;; amdgpu-corpus repo=ROCm/rocFFT kind=compiled arch=gfx1030 opt=O3
	.text
	.amdgcn_target "amdgcn-amd-amdhsa--gfx1030"
	.amdhsa_code_object_version 6
	.protected	bluestein_single_fwd_len1105_dim1_half_op_CI_CI ; -- Begin function bluestein_single_fwd_len1105_dim1_half_op_CI_CI
	.globl	bluestein_single_fwd_len1105_dim1_half_op_CI_CI
	.p2align	8
	.type	bluestein_single_fwd_len1105_dim1_half_op_CI_CI,@function
bluestein_single_fwd_len1105_dim1_half_op_CI_CI: ; @bluestein_single_fwd_len1105_dim1_half_op_CI_CI
; %bb.0:
	s_load_dwordx4 s[0:3], s[4:5], 0x28
	v_mul_u32_u24_e32 v1, 0x304, v0
	v_lshrrev_b32_e32 v1, 16, v1
	v_mad_u64_u32 v[24:25], null, s6, 3, v[1:2]
	v_mov_b32_e32 v25, 0
	s_waitcnt lgkmcnt(0)
	v_cmp_gt_u64_e32 vcc_lo, s[0:1], v[24:25]
	s_and_saveexec_b32 s0, vcc_lo
	s_cbranch_execz .LBB0_23
; %bb.1:
	v_mul_hi_u32 v2, 0xaaaaaaab, v24
	s_clause 0x1
	s_load_dwordx2 s[8:9], s[4:5], 0x0
	s_load_dwordx2 s[10:11], s[4:5], 0x38
	v_mul_lo_u16 v1, 0x55, v1
	v_sub_nc_u16 v0, v0, v1
	v_lshrrev_b32_e32 v2, 1, v2
	v_and_b32_e32 v44, 0xffff, v0
	v_lshl_add_u32 v2, v2, 1, v2
	v_cmp_gt_u16_e32 vcc_lo, 0x41, v0
	v_lshlrev_b32_e32 v43, 2, v44
	v_sub_nc_u32_e32 v1, v24, v2
	v_mul_u32_u24_e32 v45, 0x451, v1
	v_lshlrev_b32_e32 v46, 2, v45
	s_and_saveexec_b32 s1, vcc_lo
	s_cbranch_execz .LBB0_3
; %bb.2:
	s_load_dwordx2 s[6:7], s[4:5], 0x18
	s_waitcnt lgkmcnt(0)
	s_load_dwordx4 s[12:15], s[6:7], 0x0
	s_waitcnt lgkmcnt(0)
	v_mad_u64_u32 v[0:1], null, s14, v24, 0
	v_mad_u64_u32 v[2:3], null, s12, v44, 0
	s_mul_i32 s6, s13, 0x104
	s_mul_hi_u32 s7, s12, 0x104
	v_mad_u64_u32 v[4:5], null, s15, v24, v[1:2]
	v_mad_u64_u32 v[5:6], null, s13, v44, v[3:4]
	v_mov_b32_e32 v1, v4
	v_lshlrev_b64 v[0:1], 2, v[0:1]
	v_mov_b32_e32 v3, v5
	v_add_co_u32 v0, s0, s2, v0
	v_lshlrev_b64 v[2:3], 2, v[2:3]
	v_add_co_ci_u32_e64 v1, s0, s3, v1, s0
	s_mul_i32 s2, s12, 0x104
	s_add_i32 s3, s7, s6
	v_add_co_u32 v0, s0, v0, v2
	v_add_co_ci_u32_e64 v1, s0, v1, v3, s0
	v_add_co_u32 v2, s0, v0, s2
	v_add_co_ci_u32_e64 v3, s0, s3, v1, s0
	v_add_co_u32 v8, s0, s8, v43
	v_add_co_ci_u32_e64 v9, null, s9, 0, s0
	s_clause 0x1
	global_load_dword v10, v[0:1], off
	global_load_dword v11, v[2:3], off
	v_add_co_u32 v0, s0, v2, s2
	v_add_co_ci_u32_e64 v1, s0, s3, v3, s0
	s_clause 0x6
	global_load_dword v12, v43, s[8:9]
	global_load_dword v13, v43, s[8:9] offset:260
	global_load_dword v14, v43, s[8:9] offset:520
	;; [unrolled: 1-line block ×6, first 2 shown]
	global_load_dword v19, v[0:1], off
	v_add_co_u32 v0, s0, v0, s2
	v_add_co_ci_u32_e64 v1, s0, s3, v1, s0
	global_load_dword v20, v43, s[8:9] offset:1820
	v_add_co_u32 v2, s0, v0, s2
	v_add_co_ci_u32_e64 v3, s0, s3, v1, s0
	s_clause 0x1
	global_load_dword v21, v[0:1], off
	global_load_dword v22, v[2:3], off
	v_add_co_u32 v0, s0, v2, s2
	v_add_co_ci_u32_e64 v1, s0, s3, v3, s0
	v_add_co_u32 v2, s0, v0, s2
	v_add_co_ci_u32_e64 v3, s0, s3, v1, s0
	;; [unrolled: 2-line block ×3, first 2 shown]
	global_load_dword v23, v[0:1], off
	global_load_dword v25, v[2:3], off
	v_add_co_u32 v0, s0, v2, s2
	v_add_co_ci_u32_e64 v1, s0, s3, v3, s0
	s_clause 0x2
	global_load_dword v26, v[4:5], off offset:32
	global_load_dword v27, v[4:5], off offset:292
	;; [unrolled: 1-line block ×3, first 2 shown]
	v_add_co_u32 v2, s0, v0, s2
	v_add_co_ci_u32_e64 v3, s0, s3, v1, s0
	global_load_dword v29, v[0:1], off
	v_add_co_u32 v0, s0, v2, s2
	v_add_co_ci_u32_e64 v1, s0, s3, v3, s0
	global_load_dword v30, v[2:3], off
	;; [unrolled: 3-line block ×5, first 2 shown]
	v_add_co_u32 v0, s0, v2, s2
	v_add_co_ci_u32_e64 v1, s0, s3, v3, s0
	s_clause 0x1
	global_load_dword v34, v[4:5], off offset:812
	global_load_dword v35, v[4:5], off offset:1072
	v_add_co_u32 v6, s0, v0, s2
	v_add_co_ci_u32_e64 v7, s0, s3, v1, s0
	global_load_dword v36, v[2:3], off
	v_add_co_u32 v2, s0, v6, s2
	v_add_co_ci_u32_e64 v3, s0, s3, v7, s0
	global_load_dword v37, v[0:1], off
	s_clause 0x1
	global_load_dword v38, v[4:5], off offset:1332
	global_load_dword v39, v[4:5], off offset:1592
	global_load_dword v6, v[6:7], off
	global_load_dword v7, v[2:3], off
	v_add_co_u32 v0, s0, v2, s2
	v_add_co_ci_u32_e64 v1, s0, s3, v3, s0
	v_add_co_u32 v2, s0, 0x1000, v8
	v_add_co_ci_u32_e64 v3, s0, 0, v9, s0
	global_load_dword v0, v[0:1], off
	s_clause 0x1
	global_load_dword v1, v[4:5], off offset:1852
	global_load_dword v2, v[2:3], off offset:64
	v_lshl_add_u32 v4, v44, 2, v46
	v_add_nc_u32_e32 v3, v46, v43
	v_add_nc_u32_e32 v5, 0x200, v3
	;; [unrolled: 1-line block ×7, first 2 shown]
	s_waitcnt vmcnt(33)
	v_lshrrev_b32_e32 v9, 16, v10
	s_waitcnt vmcnt(31)
	v_mul_f16_sdwa v42, v12, v10 dst_sel:DWORD dst_unused:UNUSED_PAD src0_sel:WORD_1 src1_sel:DWORD
	v_lshrrev_b32_e32 v49, 16, v11
	v_mul_f16_sdwa v48, v12, v9 dst_sel:DWORD dst_unused:UNUSED_PAD src0_sel:WORD_1 src1_sel:DWORD
	v_fma_f16 v9, v12, v9, -v42
	s_waitcnt vmcnt(30)
	v_mul_f16_sdwa v42, v13, v11 dst_sel:DWORD dst_unused:UNUSED_PAD src0_sel:WORD_1 src1_sel:DWORD
	s_waitcnt vmcnt(24)
	v_mul_f16_sdwa v51, v14, v19 dst_sel:DWORD dst_unused:UNUSED_PAD src0_sel:WORD_1 src1_sel:DWORD
	v_fmac_f16_e32 v48, v12, v10
	v_mul_f16_sdwa v10, v13, v49 dst_sel:DWORD dst_unused:UNUSED_PAD src0_sel:WORD_1 src1_sel:DWORD
	v_lshrrev_b32_e32 v12, 16, v19
	v_fma_f16 v42, v13, v49, -v42
	v_pack_b32_f16 v9, v48, v9
	v_fmac_f16_e32 v10, v13, v11
	v_mul_f16_sdwa v11, v14, v12 dst_sel:DWORD dst_unused:UNUSED_PAD src0_sel:WORD_1 src1_sel:DWORD
	s_waitcnt vmcnt(22)
	v_lshrrev_b32_e32 v13, 16, v21
	v_fma_f16 v12, v14, v12, -v51
	v_mul_f16_sdwa v48, v15, v21 dst_sel:DWORD dst_unused:UNUSED_PAD src0_sel:WORD_1 src1_sel:DWORD
	ds_write_b32 v4, v9
	v_pack_b32_f16 v4, v10, v42
	v_fmac_f16_e32 v11, v14, v19
	v_mul_f16_sdwa v9, v15, v13 dst_sel:DWORD dst_unused:UNUSED_PAD src0_sel:WORD_1 src1_sel:DWORD
	s_waitcnt vmcnt(21)
	v_lshrrev_b32_e32 v10, 16, v22
	v_mul_f16_sdwa v14, v16, v22 dst_sel:DWORD dst_unused:UNUSED_PAD src0_sel:WORD_1 src1_sel:DWORD
	v_fma_f16 v13, v15, v13, -v48
	v_pack_b32_f16 v11, v11, v12
	v_fmac_f16_e32 v9, v15, v21
	v_mul_f16_sdwa v12, v16, v10 dst_sel:DWORD dst_unused:UNUSED_PAD src0_sel:WORD_1 src1_sel:DWORD
	v_fma_f16 v10, v16, v10, -v14
	s_waitcnt vmcnt(20)
	v_lshrrev_b32_e32 v14, 16, v23
	v_mul_f16_sdwa v15, v17, v23 dst_sel:DWORD dst_unused:UNUSED_PAD src0_sel:WORD_1 src1_sel:DWORD
	ds_write2_b32 v3, v4, v11 offset0:65 offset1:130
	v_pack_b32_f16 v4, v9, v13
	v_fmac_f16_e32 v12, v16, v22
	v_mul_f16_sdwa v9, v17, v14 dst_sel:DWORD dst_unused:UNUSED_PAD src0_sel:WORD_1 src1_sel:DWORD
	s_waitcnt vmcnt(19)
	v_lshrrev_b32_e32 v11, 16, v25
	v_mul_f16_sdwa v13, v18, v25 dst_sel:DWORD dst_unused:UNUSED_PAD src0_sel:WORD_1 src1_sel:DWORD
	v_fma_f16 v14, v17, v14, -v15
	v_pack_b32_f16 v10, v12, v10
	v_fmac_f16_e32 v9, v17, v23
	v_mul_f16_sdwa v12, v18, v11 dst_sel:DWORD dst_unused:UNUSED_PAD src0_sel:WORD_1 src1_sel:DWORD
	v_fma_f16 v11, v18, v11, -v13
	s_waitcnt vmcnt(15)
	v_lshrrev_b32_e32 v13, 16, v29
	v_mul_f16_sdwa v15, v20, v29 dst_sel:DWORD dst_unused:UNUSED_PAD src0_sel:WORD_1 src1_sel:DWORD
	ds_write2_b32 v5, v4, v10 offset0:67 offset1:132
	;; [unrolled: 15-line block ×3, first 2 shown]
	v_pack_b32_f16 v4, v5, v13
	v_fmac_f16_e32 v12, v26, v30
	v_mul_f16_sdwa v5, v27, v10 dst_sel:DWORD dst_unused:UNUSED_PAD src0_sel:WORD_1 src1_sel:DWORD
	s_waitcnt vmcnt(12)
	v_lshrrev_b32_e32 v8, 16, v32
	v_fma_f16 v10, v27, v10, -v14
	v_mul_f16_sdwa v11, v28, v32 dst_sel:DWORD dst_unused:UNUSED_PAD src0_sel:WORD_1 src1_sel:DWORD
	v_pack_b32_f16 v9, v12, v9
	v_fmac_f16_e32 v5, v27, v31
	v_mul_f16_sdwa v12, v28, v8 dst_sel:DWORD dst_unused:UNUSED_PAD src0_sel:WORD_1 src1_sel:DWORD
	s_waitcnt vmcnt(11)
	v_lshrrev_b32_e32 v13, 16, v33
	s_waitcnt vmcnt(10)
	v_mul_f16_sdwa v14, v34, v33 dst_sel:DWORD dst_unused:UNUSED_PAD src0_sel:WORD_1 src1_sel:DWORD
	v_fma_f16 v8, v28, v8, -v11
	v_pack_b32_f16 v5, v5, v10
	v_fmac_f16_e32 v12, v28, v32
	v_mul_f16_sdwa v10, v34, v13 dst_sel:DWORD dst_unused:UNUSED_PAD src0_sel:WORD_1 src1_sel:DWORD
	v_fma_f16 v11, v34, v13, -v14
	s_waitcnt vmcnt(8)
	v_lshrrev_b32_e32 v13, 16, v36
	v_mul_f16_sdwa v14, v35, v36 dst_sel:DWORD dst_unused:UNUSED_PAD src0_sel:WORD_1 src1_sel:DWORD
	v_pack_b32_f16 v8, v12, v8
	v_fmac_f16_e32 v10, v34, v33
	s_waitcnt vmcnt(7)
	v_lshrrev_b32_e32 v12, 16, v37
	v_mul_f16_sdwa v15, v35, v13 dst_sel:DWORD dst_unused:UNUSED_PAD src0_sel:WORD_1 src1_sel:DWORD
	v_fma_f16 v13, v35, v13, -v14
	s_waitcnt vmcnt(6)
	v_mul_f16_sdwa v14, v38, v37 dst_sel:DWORD dst_unused:UNUSED_PAD src0_sel:WORD_1 src1_sel:DWORD
	s_waitcnt vmcnt(4)
	v_lshrrev_b32_e32 v16, 16, v6
	v_pack_b32_f16 v10, v10, v11
	v_mul_f16_sdwa v11, v38, v12 dst_sel:DWORD dst_unused:UNUSED_PAD src0_sel:WORD_1 src1_sel:DWORD
	s_waitcnt vmcnt(3)
	v_lshrrev_b32_e32 v17, 16, v7
	v_fma_f16 v12, v38, v12, -v14
	v_mul_f16_sdwa v14, v39, v6 dst_sel:DWORD dst_unused:UNUSED_PAD src0_sel:WORD_1 src1_sel:DWORD
	s_waitcnt vmcnt(2)
	v_lshrrev_b32_e32 v19, 16, v0
	v_mul_f16_sdwa v18, v39, v16 dst_sel:DWORD dst_unused:UNUSED_PAD src0_sel:WORD_1 src1_sel:DWORD
	s_waitcnt vmcnt(1)
	v_mul_f16_sdwa v20, v1, v17 dst_sel:DWORD dst_unused:UNUSED_PAD src0_sel:WORD_1 src1_sel:DWORD
	s_waitcnt vmcnt(0)
	v_mul_f16_sdwa v21, v2, v0 dst_sel:DWORD dst_unused:UNUSED_PAD src0_sel:WORD_1 src1_sel:DWORD
	v_fma_f16 v14, v39, v16, -v14
	v_mul_f16_sdwa v16, v1, v7 dst_sel:DWORD dst_unused:UNUSED_PAD src0_sel:WORD_1 src1_sel:DWORD
	v_mul_f16_sdwa v22, v2, v19 dst_sel:DWORD dst_unused:UNUSED_PAD src0_sel:WORD_1 src1_sel:DWORD
	v_fmac_f16_e32 v15, v35, v36
	v_fmac_f16_e32 v11, v38, v37
	;; [unrolled: 1-line block ×3, first 2 shown]
	v_fma_f16 v6, v1, v17, -v16
	v_fmac_f16_e32 v20, v1, v7
	v_fma_f16 v1, v2, v19, -v21
	v_fmac_f16_e32 v22, v2, v0
	v_pack_b32_f16 v0, v15, v13
	v_pack_b32_f16 v2, v11, v12
	v_pack_b32_f16 v7, v18, v14
	v_pack_b32_f16 v6, v20, v6
	v_pack_b32_f16 v1, v22, v1
	v_add_nc_u32_e32 v3, 0xe00, v3
	ds_write2_b32 v40, v4, v9 offset0:71 offset1:136
	ds_write2_b32 v41, v5, v8 offset0:73 offset1:138
	;; [unrolled: 1-line block ×5, first 2 shown]
.LBB0_3:
	s_or_b32 exec_lo, exec_lo, s1
	s_clause 0x1
	s_load_dwordx2 s[0:1], s[4:5], 0x20
	s_load_dwordx2 s[2:3], s[4:5], 0x8
	v_mov_b32_e32 v8, 0
	s_waitcnt lgkmcnt(0)
	s_barrier
	buffer_gl0_inv
                                        ; implicit-def: $vgpr16
                                        ; implicit-def: $vgpr1
                                        ; implicit-def: $vgpr3
                                        ; implicit-def: $vgpr5
                                        ; implicit-def: $vgpr7
                                        ; implicit-def: $vgpr11
                                        ; implicit-def: $vgpr13
                                        ; implicit-def: $vgpr15
                                        ; implicit-def: $vgpr39
	s_and_saveexec_b32 s4, vcc_lo
	s_cbranch_execz .LBB0_5
; %bb.4:
	v_lshl_add_u32 v16, v45, 2, v43
	v_add_nc_u32_e32 v0, 0x400, v16
	v_add_nc_u32_e32 v1, 0x800, v16
	;; [unrolled: 1-line block ×3, first 2 shown]
	ds_read2_b32 v[8:9], v16 offset1:65
	ds_read2_b32 v[14:15], v16 offset0:130 offset1:195
	ds_read2_b32 v[12:13], v0 offset0:4 offset1:69
	;; [unrolled: 1-line block ×7, first 2 shown]
	ds_read_b32 v16, v16 offset:4160
	s_waitcnt lgkmcnt(7)
	v_alignbit_b32 v39, v14, v14, 16
.LBB0_5:
	s_or_b32 exec_lo, exec_lo, s4
	s_waitcnt lgkmcnt(0)
	v_pk_add_f16 v14, v9, v16 neg_lo:[0,1] neg_hi:[0,1]
	v_mov_b32_e32 v68, 0xb5c8
	v_pk_add_f16 v18, v16, v9
	v_mov_b32_e32 v82, 0xbb29
	v_mov_b32_e32 v78, 0xbbf7
	v_mul_f16_e32 v58, 0xb964, v14
	v_mul_f16_sdwa v53, v14, v68 dst_sel:DWORD dst_unused:UNUSED_PAD src0_sel:WORD_1 src1_sel:DWORD
	v_lshrrev_b32_e32 v31, 16, v18
	v_mul_f16_sdwa v61, v14, v82 dst_sel:DWORD dst_unused:UNUSED_PAD src0_sel:WORD_1 src1_sel:DWORD
	v_mul_f16_e32 v67, 0xbb29, v14
	v_mov_b32_e32 v69, 0xba62
	v_fmamk_f16 v17, v18, 0x3b76, v53
	v_fma_f16 v19, v31, 0x39e9, -v58
	v_fmamk_f16 v20, v18, 0x3722, v61
	v_fma_f16 v21, v31, 0x3722, -v67
	v_mul_f16_sdwa v77, v14, v78 dst_sel:DWORD dst_unused:UNUSED_PAD src0_sel:WORD_1 src1_sel:DWORD
	v_add_f16_e32 v22, v17, v8
	v_add_f16_sdwa v23, v19, v8 dst_sel:DWORD dst_unused:UNUSED_PAD src0_sel:DWORD src1_sel:WORD_1
	v_pk_add_f16 v17, v1, v39 op_sel:[1,0] op_sel_hi:[0,1]
	v_pk_add_f16 v19, v39, v1 op_sel:[1,0] op_sel_hi:[0,1] neg_lo:[0,1] neg_hi:[0,1]
	v_mov_b32_e32 v113, 0xb964
	v_add_f16_e32 v20, v20, v8
	v_add_f16_sdwa v25, v21, v8 dst_sel:DWORD dst_unused:UNUSED_PAD src0_sel:DWORD src1_sel:WORD_1
	v_lshrrev_b32_e32 v29, 16, v17
	v_mul_f16_e32 v60, 0xbbf7, v19
	v_mul_f16_sdwa v64, v19, v69 dst_sel:DWORD dst_unused:UNUSED_PAD src0_sel:WORD_1 src1_sel:DWORD
	v_fmamk_f16 v21, v18, 0x2de8, v77
	v_mul_f16_sdwa v55, v19, v113 dst_sel:DWORD dst_unused:UNUSED_PAD src0_sel:WORD_1 src1_sel:DWORD
	v_mul_f16_e32 v73, 0xba62, v19
	v_fma_f16 v28, v17, 0x2de8, -v60
	v_fmamk_f16 v30, v29, 0xb8d2, v64
	v_mov_b32_e32 v91, 0xb1e1
	v_mul_f16_e32 v87, 0xbbf7, v14
	v_add_f16_e32 v27, v21, v8
	v_fmamk_f16 v21, v29, 0x39e9, v55
	v_add_f16_e32 v23, v28, v23
	v_add_f16_e32 v28, v30, v20
	v_fma_f16 v30, v17, 0xb8d2, -v73
	v_mul_f16_sdwa v83, v19, v91 dst_sel:DWORD dst_unused:UNUSED_PAD src0_sel:WORD_1 src1_sel:DWORD
	v_pk_add_f16 v20, v15, v0 neg_lo:[0,1] neg_hi:[0,1]
	v_mov_b32_e32 v33, 0x31e1
	v_fma_f16 v26, v31, 0x2de8, -v87
	v_add_f16_e32 v22, v21, v22
	v_mul_f16_e32 v96, 0xb1e1, v19
	v_pk_add_f16 v21, v0, v15
	v_add_f16_e32 v25, v30, v25
	v_fmamk_f16 v30, v29, 0xbbdd, v83
	v_mul_f16_sdwa v57, v20, v82 dst_sel:DWORD dst_unused:UNUSED_PAD src0_sel:WORD_1 src1_sel:DWORD
	v_mul_f16_sdwa v70, v20, v33 dst_sel:DWORD dst_unused:UNUSED_PAD src0_sel:WORD_1 src1_sel:DWORD
	v_mov_b32_e32 v85, 0x3bb2
	v_add_f16_sdwa v26, v26, v8 dst_sel:DWORD dst_unused:UNUSED_PAD src0_sel:DWORD src1_sel:WORD_1
	v_fma_f16 v32, v17, 0xbbdd, -v96
	v_lshrrev_b32_e32 v34, 16, v21
	v_mul_f16_e32 v62, 0xba62, v20
	v_add_f16_e32 v27, v30, v27
	v_fmamk_f16 v30, v21, 0x3722, v57
	v_fmamk_f16 v33, v21, 0xbbdd, v70
	v_mul_f16_sdwa v92, v20, v85 dst_sel:DWORD dst_unused:UNUSED_PAD src0_sel:WORD_1 src1_sel:DWORD
	v_add_f16_e32 v26, v32, v26
	v_fma_f16 v32, v34, 0xb8d2, -v62
	v_add_f16_e32 v30, v30, v22
	v_add_f16_e32 v28, v33, v28
	v_fmamk_f16 v33, v21, 0xb461, v92
	v_mul_f16_e32 v116, 0x3bb2, v20
	v_pk_add_f16 v22, v12, v3 neg_lo:[0,1] neg_hi:[0,1]
	v_mul_f16_e32 v80, 0x31e1, v20
	v_add_f16_e32 v32, v32, v23
	v_pk_add_f16 v23, v3, v12
	v_add_f16_e32 v33, v33, v27
	v_fma_f16 v27, v34, 0xb461, -v116
	v_mul_f16_sdwa v59, v22, v78 dst_sel:DWORD dst_unused:UNUSED_PAD src0_sel:WORD_1 src1_sel:DWORD
	v_fma_f16 v35, v34, 0xbbdd, -v80
	v_lshrrev_b32_e32 v37, 16, v23
	v_mul_f16_e32 v66, 0xb1e1, v22
	v_mul_f16_sdwa v74, v22, v85 dst_sel:DWORD dst_unused:UNUSED_PAD src0_sel:WORD_1 src1_sel:DWORD
	v_add_f16_e32 v26, v27, v26
	v_fmamk_f16 v27, v23, 0x2de8, v59
	v_mov_b32_e32 v40, 0x35c8
	v_add_f16_e32 v25, v35, v25
	v_mul_f16_e32 v84, 0x3bb2, v22
	v_fma_f16 v35, v37, 0xbbdd, -v66
	v_fmamk_f16 v36, v23, 0xb461, v74
	v_add_f16_e32 v41, v27, v30
	v_mul_f16_sdwa v103, v22, v40 dst_sel:DWORD dst_unused:UNUSED_PAD src0_sel:WORD_1 src1_sel:DWORD
	v_mul_f16_e32 v120, 0x35c8, v22
	v_pk_add_f16 v27, v13, v2 neg_lo:[0,1] neg_hi:[0,1]
	v_mov_b32_e32 v115, 0xbbb2
	v_pk_add_f16 v30, v2, v13
	v_mov_b32_e32 v143, 0x3964
	v_fma_f16 v38, v37, 0xb461, -v84
	v_add_f16_e32 v32, v35, v32
	v_add_f16_e32 v28, v36, v28
	v_fmamk_f16 v35, v23, 0x3b76, v103
	v_fma_f16 v36, v37, 0x3b76, -v120
	v_mul_f16_sdwa v63, v27, v115 dst_sel:DWORD dst_unused:UNUSED_PAD src0_sel:WORD_1 src1_sel:DWORD
	v_lshrrev_b32_e32 v48, 16, v30
	v_mul_f16_e32 v72, 0x3836, v27
	v_mul_f16_sdwa v81, v27, v143 dst_sel:DWORD dst_unused:UNUSED_PAD src0_sel:WORD_1 src1_sel:DWORD
	v_add_f16_e32 v25, v38, v25
	v_add_f16_e32 v35, v35, v33
	;; [unrolled: 1-line block ×3, first 2 shown]
	v_fmamk_f16 v33, v30, 0xb461, v63
	v_fma_f16 v36, v48, 0xbacd, -v72
	v_fmamk_f16 v38, v30, 0x39e9, v81
	v_mul_f16_e32 v89, 0x3964, v27
	v_mul_f16_sdwa v114, v27, v82 dst_sel:DWORD dst_unused:UNUSED_PAD src0_sel:WORD_1 src1_sel:DWORD
	v_add_f16_e32 v40, v33, v41
	v_add_f16_e32 v36, v36, v32
	;; [unrolled: 1-line block ×3, first 2 shown]
	v_fma_f16 v38, v48, 0x39e9, -v89
	v_fmamk_f16 v41, v30, 0x3722, v114
	v_mul_f16_e32 v124, 0xbb29, v27
	v_pk_add_f16 v32, v10, v5 neg_lo:[0,1] neg_hi:[0,1]
	v_pk_add_f16 v33, v5, v10
	v_add_f16_e32 v25, v38, v25
	v_add_f16_e32 v38, v41, v35
	v_fma_f16 v35, v48, 0x3722, -v124
	v_mul_f16_sdwa v65, v32, v69 dst_sel:DWORD dst_unused:UNUSED_PAD src0_sel:WORD_1 src1_sel:DWORD
	v_lshrrev_b32_e32 v52, 16, v33
	v_mul_f16_e32 v75, 0x3bb2, v32
	v_mul_f16_sdwa v86, v32, v68 dst_sel:DWORD dst_unused:UNUSED_PAD src0_sel:WORD_1 src1_sel:DWORD
	v_mov_b32_e32 v130, 0xb836
	v_add_f16_e32 v26, v35, v26
	v_fmamk_f16 v35, v33, 0xb8d2, v65
	v_fma_f16 v41, v52, 0xb461, -v75
	v_fmamk_f16 v42, v33, 0x3b76, v86
	v_mul_f16_e32 v101, 0xb5c8, v32
	v_mul_f16_sdwa v118, v32, v130 dst_sel:DWORD dst_unused:UNUSED_PAD src0_sel:WORD_1 src1_sel:DWORD
	v_add_f16_e32 v40, v35, v40
	v_add_f16_e32 v41, v41, v36
	;; [unrolled: 1-line block ×3, first 2 shown]
	v_fma_f16 v42, v52, 0x3b76, -v101
	v_fmamk_f16 v47, v33, 0xbacd, v118
	v_mul_f16_e32 v128, 0xb836, v32
	v_pk_add_f16 v35, v11, v4 neg_lo:[0,1] neg_hi:[0,1]
	v_pk_add_f16 v36, v4, v11
	v_add_f16_e32 v25, v42, v25
	v_add_f16_e32 v42, v47, v38
	v_fma_f16 v38, v52, 0xbacd, -v128
	v_mul_f16_sdwa v71, v35, v130 dst_sel:DWORD dst_unused:UNUSED_PAD src0_sel:WORD_1 src1_sel:DWORD
	v_lshrrev_b32_e32 v54, 16, v36
	v_mul_f16_e32 v79, 0x3b29, v35
	v_mul_f16_sdwa v90, v35, v78 dst_sel:DWORD dst_unused:UNUSED_PAD src0_sel:WORD_1 src1_sel:DWORD
	v_mov_b32_e32 v125, 0x3a62
	v_add_f16_e32 v26, v38, v26
	v_fmamk_f16 v38, v36, 0xbacd, v71
	v_fma_f16 v47, v54, 0x3722, -v79
	v_fmamk_f16 v49, v36, 0x2de8, v90
	v_mul_f16_e32 v112, 0xbbf7, v35
	v_mul_f16_sdwa v119, v35, v125 dst_sel:DWORD dst_unused:UNUSED_PAD src0_sel:WORD_1 src1_sel:DWORD
	v_add_f16_e32 v50, v38, v40
	v_add_f16_e32 v41, v47, v41
	;; [unrolled: 1-line block ×3, first 2 shown]
	v_fma_f16 v47, v54, 0x2de8, -v112
	v_mul_f16_e32 v134, 0x3a62, v35
	v_fmamk_f16 v49, v36, 0xb8d2, v119
	v_pk_add_f16 v38, v6, v7 neg_lo:[0,1] neg_hi:[0,1]
	v_pk_add_f16 v40, v7, v6
	v_add_f16_e32 v47, v47, v25
	v_fma_f16 v25, v54, 0xb8d2, -v134
	v_add_f16_e32 v122, v49, v42
	v_mul_f16_sdwa v76, v38, v91 dst_sel:DWORD dst_unused:UNUSED_PAD src0_sel:WORD_1 src1_sel:DWORD
	v_lshrrev_b32_e32 v56, 16, v40
	v_mul_f16_e32 v88, 0x35c8, v38
	v_pk_mul_f16 v42, 0x3b7639e9, v18
	v_add_f16_e32 v26, v25, v26
	v_fmamk_f16 v25, v40, 0xbbdd, v76
	v_mul_f16_sdwa v117, v38, v130 dst_sel:DWORD dst_unused:UNUSED_PAD src0_sel:WORD_1 src1_sel:DWORD
	v_fma_f16 v51, v56, 0x3b76, -v88
	v_pk_mul_f16 v95, 0xbbf7b964, v19
	v_pk_fma_f16 v93, 0xb964b5c8, v14, v42 op_sel:[0,0,1] op_sel_hi:[1,1,0] neg_lo:[0,1,0] neg_hi:[0,1,0]
	v_pk_fma_f16 v98, 0xb964b5c8, v14, v42 op_sel:[0,0,1] op_sel_hi:[1,1,0]
	v_add_f16_e32 v49, v25, v50
	v_fmamk_f16 v25, v40, 0xbacd, v117
	v_add_f16_e32 v50, v51, v41
	v_pk_fma_f16 v94, 0x2de839e9, v17, v95 neg_lo:[0,0,1] neg_hi:[0,0,1]
	v_add_f16_sdwa v41, v93, v8 dst_sel:DWORD dst_unused:UNUSED_PAD src0_sel:DWORD src1_sel:WORD_1
	v_pk_mul_f16 v51, 0x3722b8d2, v21
	v_pk_fma_f16 v102, 0x2de839e9, v17, v95
	v_add_f16_sdwa v99, v98, v8 dst_sel:DWORD dst_unused:UNUSED_PAD src0_sel:WORD_1 src1_sel:DWORD
	v_add_f16_e32 v25, v25, v28
	v_add_f16_e32 v28, v94, v41
	v_pk_fma_f16 v97, 0xba62bb29, v20, v51 op_sel:[0,0,1] op_sel_hi:[1,1,0] neg_lo:[0,1,0] neg_hi:[0,1,0]
	v_pk_mul_f16 v41, 0x2de8bbdd, v23
	v_pk_fma_f16 v107, 0xba62bb29, v20, v51 op_sel:[0,0,1] op_sel_hi:[1,1,0]
	v_add_f16_sdwa v51, v102, v99 dst_sel:DWORD dst_unused:UNUSED_PAD src0_sel:WORD_1 src1_sel:DWORD
	v_pk_mul_f16 v104, 0xb461bacd, v30
	v_add_f16_e32 v28, v97, v28
	v_pk_fma_f16 v95, 0xb1e1bbf7, v22, v41 op_sel:[0,0,1] op_sel_hi:[1,1,0] neg_lo:[0,1,0] neg_hi:[0,1,0]
	v_pk_fma_f16 v100, 0xb1e1bbf7, v22, v41 op_sel:[0,0,1] op_sel_hi:[1,1,0]
	v_add_f16_sdwa v51, v107, v51 dst_sel:DWORD dst_unused:UNUSED_PAD src0_sel:WORD_1 src1_sel:DWORD
	v_pk_fma_f16 v99, 0x3836bbb2, v27, v104 op_sel:[0,0,1] op_sel_hi:[1,1,0] neg_lo:[0,1,0] neg_hi:[0,1,0]
	v_pk_mul_f16 v41, 0xb8d2b461, v33
	v_add_f16_e32 v28, v95, v28
	v_pk_fma_f16 v105, 0x3836bbb2, v27, v104 op_sel:[0,0,1] op_sel_hi:[1,1,0]
	v_add_f16_sdwa v51, v100, v51 dst_sel:DWORD dst_unused:UNUSED_PAD src0_sel:WORD_1 src1_sel:DWORD
	v_pk_mul_f16 v109, 0xbacd3722, v36
	v_pk_fma_f16 v104, 0x3bb2ba62, v32, v41 op_sel:[0,0,1] op_sel_hi:[1,1,0] neg_lo:[0,1,0] neg_hi:[0,1,0]
	v_add_f16_e32 v28, v99, v28
	v_pk_fma_f16 v108, 0x3bb2ba62, v32, v41 op_sel:[0,0,1] op_sel_hi:[1,1,0]
	v_add_f16_sdwa v41, v105, v51 dst_sel:DWORD dst_unused:UNUSED_PAD src0_sel:WORD_1 src1_sel:DWORD
	v_mul_f16_e32 v121, 0xb836, v38
	v_mul_f16_e32 v155, 0x3964, v38
	v_add_f16_e32 v28, v104, v28
	v_pk_fma_f16 v106, 0x3b29b836, v35, v109 op_sel:[0,0,1] op_sel_hi:[1,1,0] neg_lo:[0,1,0] neg_hi:[0,1,0]
	v_pk_mul_f16 v51, 0xbbdd3b76, v40
	v_pk_fma_f16 v109, 0x3b29b836, v35, v109 op_sel:[0,0,1] op_sel_hi:[1,1,0]
	v_mul_f16_sdwa v144, v38, v143 dst_sel:DWORD dst_unused:UNUSED_PAD src0_sel:WORD_1 src1_sel:DWORD
	v_add_f16_sdwa v41, v108, v41 dst_sel:DWORD dst_unused:UNUSED_PAD src0_sel:WORD_1 src1_sel:DWORD
	v_fma_f16 v42, v56, 0xbacd, -v121
	v_fma_f16 v123, v56, 0x39e9, -v155
	v_add_f16_e32 v28, v106, v28
	v_pk_fma_f16 v110, 0x35c8b1e1, v38, v51 op_sel:[0,0,1] op_sel_hi:[1,1,0] neg_lo:[0,1,0] neg_hi:[0,1,0]
	v_pk_fma_f16 v111, 0x35c8b1e1, v38, v51 op_sel:[0,0,1] op_sel_hi:[1,1,0]
	v_fmamk_f16 v126, v40, 0x39e9, v144
	v_add_f16_sdwa v127, v109, v41 dst_sel:DWORD dst_unused:UNUSED_PAD src0_sel:WORD_1 src1_sel:DWORD
	v_add_f16_e32 v41, v42, v47
	v_add_f16_e32 v42, v123, v26
	;; [unrolled: 1-line block ×4, first 2 shown]
	v_add_f16_sdwa v26, v111, v127 dst_sel:DWORD dst_unused:UNUSED_PAD src0_sel:WORD_1 src1_sel:DWORD
	v_mul_lo_u16 v47, v44, 17
	s_barrier
	buffer_gl0_inv
	s_and_saveexec_b32 s4, vcc_lo
	s_cbranch_execz .LBB0_7
; %bb.6:
	v_mul_f16_e32 v131, 0xb836, v14
	v_mul_f16_sdwa v127, v14, v130 dst_sel:DWORD dst_unused:UNUSED_PAD src0_sel:WORD_1 src1_sel:DWORD
	v_mov_b32_e32 v141, 0x3b29
	v_mul_f16_e32 v145, 0x3b29, v19
	v_mul_f16_e32 v142, 0xbbf7, v20
	v_fmamk_f16 v126, v31, 0xbacd, v131
	v_fma_f16 v129, v18, 0xbacd, -v127
	v_mul_f16_sdwa v123, v19, v141 dst_sel:DWORD dst_unused:UNUSED_PAD src0_sel:WORD_1 src1_sel:DWORD
	v_mul_f16_sdwa v122, v20, v78 dst_sel:DWORD dst_unused:UNUSED_PAD src0_sel:WORD_1 src1_sel:DWORD
	v_fmamk_f16 v78, v17, 0x3722, v145
	v_add_f16_sdwa v126, v126, v8 dst_sel:DWORD dst_unused:UNUSED_PAD src0_sel:DWORD src1_sel:WORD_1
	v_add_f16_e32 v129, v129, v8
	v_fma_f16 v132, v29, 0x3722, -v123
	v_mul_f16_e32 v149, 0x3a62, v22
	v_fmamk_f16 v133, v34, 0x2de8, v142
	v_add_f16_e32 v78, v78, v126
	v_mul_f16_sdwa v125, v22, v125 dst_sel:DWORD dst_unused:UNUSED_PAD src0_sel:WORD_1 src1_sel:DWORD
	v_add_f16_e32 v126, v132, v129
	v_fma_f16 v129, v21, 0x2de8, -v122
	v_mul_f16_e32 v146, 0xb5c8, v27
	v_fmamk_f16 v132, v37, 0xb8d2, v149
	v_add_f16_e32 v78, v133, v78
	v_fma_f16 v133, v23, 0xb8d2, -v125
	v_add_f16_e32 v129, v129, v126
	v_fmamk_f16 v135, v48, 0x3b76, v146
	v_mul_f16_sdwa v126, v27, v68 dst_sel:DWORD dst_unused:UNUSED_PAD src0_sel:WORD_1 src1_sel:DWORD
	v_add_f16_e32 v78, v132, v78
	v_mul_f16_e32 v137, 0xb1e1, v32
	v_mul_f16_e32 v150, 0xba62, v14
	v_add_f16_e32 v132, v133, v129
	v_fma_f16 v133, v30, 0x3b76, -v126
	v_add_f16_e32 v78, v135, v78
	v_mul_f16_sdwa v129, v32, v91 dst_sel:DWORD dst_unused:UNUSED_PAD src0_sel:WORD_1 src1_sel:DWORD
	v_fmamk_f16 v135, v52, 0xbbdd, v137
	v_fmamk_f16 v136, v31, 0xb8d2, v150
	v_mul_f16_e32 v151, 0x3bb2, v19
	v_add_f16_e32 v132, v133, v132
	v_fma_f16 v133, v33, 0xbbdd, -v129
	v_add_f16_e32 v78, v135, v78
	v_add_f16_sdwa v135, v136, v8 dst_sel:DWORD dst_unused:UNUSED_PAD src0_sel:DWORD src1_sel:WORD_1
	v_fmamk_f16 v136, v17, 0xb461, v151
	v_mul_f16_e32 v152, 0xb5c8, v20
	v_add_f16_e32 v132, v133, v132
	v_mul_f16_e32 v159, 0x3964, v35
	v_mul_f16_sdwa v133, v35, v143 dst_sel:DWORD dst_unused:UNUSED_PAD src0_sel:WORD_1 src1_sel:DWORD
	v_add_f16_e32 v135, v136, v135
	v_fmamk_f16 v136, v34, 0x3b76, v152
	v_mul_f16_e32 v153, 0xb836, v22
	v_fmamk_f16 v138, v54, 0x39e9, v159
	v_fma_f16 v139, v36, 0x39e9, -v133
	v_mul_f16_e32 v156, 0xbbb2, v38
	v_add_f16_e32 v135, v136, v135
	v_fmamk_f16 v136, v37, 0xbacd, v153
	v_mul_f16_e32 v147, 0x3bf7, v27
	v_add_f16_e32 v78, v138, v78
	v_fmamk_f16 v138, v56, 0xb461, v156
	v_add_f16_e32 v132, v139, v132
	v_add_f16_e32 v135, v136, v135
	v_fmamk_f16 v139, v48, 0x2de8, v147
	v_mul_f16_e32 v148, 0xb964, v32
	v_mul_f16_sdwa v162, v14, v69 dst_sel:DWORD dst_unused:UNUSED_PAD src0_sel:WORD_1 src1_sel:DWORD
	v_add_f16_e32 v78, v138, v78
	v_mul_f16_sdwa v136, v38, v115 dst_sel:DWORD dst_unused:UNUSED_PAD src0_sel:WORD_1 src1_sel:DWORD
	v_add_f16_e32 v135, v139, v135
	v_fmamk_f16 v138, v52, 0x39e9, v148
	v_mul_f16_e32 v157, 0xb1e1, v35
	v_fma_f16 v139, v18, 0xb8d2, -v162
	v_mul_f16_sdwa v160, v19, v85 dst_sel:DWORD dst_unused:UNUSED_PAD src0_sel:WORD_1 src1_sel:DWORD
	v_fma_f16 v85, v40, 0xb461, -v136
	v_add_f16_e32 v135, v138, v135
	v_fmamk_f16 v138, v54, 0xbbdd, v157
	v_add_f16_e32 v139, v139, v8
	v_fma_f16 v140, v29, 0xb461, -v160
	v_mul_f16_sdwa v161, v20, v68 dst_sel:DWORD dst_unused:UNUSED_PAD src0_sel:WORD_1 src1_sel:DWORD
	v_mul_f16_e32 v164, 0xbbb2, v14
	v_add_f16_e32 v85, v85, v132
	v_add_f16_e32 v163, v138, v135
	v_add_f16_e32 v132, v140, v139
	v_fma_f16 v135, v21, 0x3b76, -v161
	v_mul_f16_sdwa v165, v22, v130 dst_sel:DWORD dst_unused:UNUSED_PAD src0_sel:WORD_1 src1_sel:DWORD
	v_mov_b32_e32 v166, 0x3bf7
	v_fmamk_f16 v130, v31, 0xb461, v164
	v_mul_f16_e32 v167, 0x3836, v19
	v_add_f16_e32 v132, v135, v132
	v_fma_f16 v135, v23, 0xbacd, -v165
	v_mul_f16_sdwa v154, v27, v166 dst_sel:DWORD dst_unused:UNUSED_PAD src0_sel:WORD_1 src1_sel:DWORD
	v_add_f16_sdwa v130, v130, v8 dst_sel:DWORD dst_unused:UNUSED_PAD src0_sel:DWORD src1_sel:WORD_1
	v_fmamk_f16 v138, v17, 0xbacd, v167
	v_mul_f16_e32 v158, 0x3964, v20
	v_add_f16_e32 v132, v135, v132
	v_fma_f16 v139, v30, 0x2de8, -v154
	v_mul_f16_sdwa v135, v32, v113 dst_sel:DWORD dst_unused:UNUSED_PAD src0_sel:WORD_1 src1_sel:DWORD
	v_add_f16_e32 v113, v138, v130
	v_fmamk_f16 v130, v34, 0x39e9, v158
	v_mul_f16_e32 v138, 0xbb29, v22
	v_add_f16_e32 v140, v139, v132
	v_fma_f16 v168, v33, 0x39e9, -v135
	v_mul_f16_sdwa v132, v35, v91 dst_sel:DWORD dst_unused:UNUSED_PAD src0_sel:WORD_1 src1_sel:DWORD
	v_add_f16_e32 v113, v130, v113
	v_fmamk_f16 v130, v37, 0x3722, v138
	v_mul_f16_e32 v139, 0xb1e1, v27
	v_add_f16_e32 v168, v168, v140
	v_fma_f16 v170, v36, 0xbbdd, -v132
	v_mul_f16_e32 v140, 0x3bf7, v32
	v_add_f16_e32 v113, v130, v113
	v_fmamk_f16 v171, v48, 0xbbdd, v139
	v_mul_f16_e32 v169, 0x3b29, v38
	v_mul_f16_sdwa v130, v38, v141 dst_sel:DWORD dst_unused:UNUSED_PAD src0_sel:WORD_1 src1_sel:DWORD
	v_add_f16_e32 v168, v170, v168
	v_fmamk_f16 v170, v52, 0x2de8, v140
	v_add_f16_e32 v113, v171, v113
	v_mul_f16_e32 v141, 0xb5c8, v35
	v_fmamk_f16 v172, v56, 0x3722, v169
	v_fma_f16 v171, v40, 0x3722, -v130
	v_mul_f16_sdwa v173, v14, v115 dst_sel:DWORD dst_unused:UNUSED_PAD src0_sel:WORD_1 src1_sel:DWORD
	v_mov_b32_e32 v115, 0x3836
	v_add_f16_e32 v170, v170, v113
	v_fmamk_f16 v174, v54, 0x3b76, v141
	v_add_f16_e32 v113, v172, v163
	v_fma_f16 v163, v18, 0xb461, -v173
	v_mul_f16_sdwa v172, v19, v115 dst_sel:DWORD dst_unused:UNUSED_PAD src0_sel:WORD_1 src1_sel:DWORD
	v_add_f16_e32 v115, v171, v168
	v_add_f16_e32 v168, v174, v170
	v_mul_f16_e32 v170, 0x2de8, v31
	v_add_f16_e32 v163, v163, v8
	v_fma_f16 v171, v29, 0xbacd, -v172
	v_mul_f16_sdwa v143, v20, v143 dst_sel:DWORD dst_unused:UNUSED_PAD src0_sel:WORD_1 src1_sel:DWORD
	v_mul_f16_e32 v174, 0xbbdd, v17
	v_add_f16_e32 v87, v87, v170
	v_mul_f16_e32 v170, 0xba62, v38
	v_add_f16_e32 v163, v171, v163
	v_fma_f16 v171, v21, 0x39e9, -v143
	v_add_f16_e32 v96, v96, v174
	v_add_f16_sdwa v87, v87, v8 dst_sel:DWORD dst_unused:UNUSED_PAD src0_sel:DWORD src1_sel:WORD_1
	v_mul_f16_sdwa v174, v22, v82 dst_sel:DWORD dst_unused:UNUSED_PAD src0_sel:WORD_1 src1_sel:DWORD
	v_fmamk_f16 v82, v56, 0xb8d2, v170
	v_mul_f16_e32 v175, 0xb461, v34
	v_add_f16_e32 v163, v171, v163
	v_add_f16_e32 v87, v96, v87
	v_fma_f16 v96, v23, 0x3722, -v174
	v_mul_f16_sdwa v91, v27, v91 dst_sel:DWORD dst_unused:UNUSED_PAD src0_sel:WORD_1 src1_sel:DWORD
	v_add_f16_e32 v116, v116, v175
	v_add_f16_e32 v82, v82, v168
	v_mul_f16_e32 v168, 0x3b76, v37
	v_add_f16_e32 v96, v96, v163
	v_fma_f16 v163, v30, 0xbbdd, -v91
	v_add_f16_e32 v87, v116, v87
	v_mul_f16_sdwa v116, v32, v166 dst_sel:DWORD dst_unused:UNUSED_PAD src0_sel:WORD_1 src1_sel:DWORD
	v_add_f16_e32 v120, v120, v168
	v_mul_f16_e32 v166, 0x2de8, v18
	v_add_f16_e32 v96, v163, v96
	v_mul_f16_e32 v163, 0x3722, v48
	v_mul_f16_e32 v171, 0xbbdd, v29
	v_add_f16_e32 v87, v120, v87
	v_sub_f16_e32 v77, v166, v77
	v_fma_f16 v168, v33, 0x2de8, -v116
	v_add_f16_e32 v120, v124, v163
	v_sub_f16_e32 v83, v171, v83
	v_mul_f16_e32 v124, 0xb461, v21
	v_add_f16_e32 v77, v77, v8
	v_mul_f16_sdwa v68, v35, v68 dst_sel:DWORD dst_unused:UNUSED_PAD src0_sel:WORD_1 src1_sel:DWORD
	v_add_f16_e32 v87, v120, v87
	v_mul_f16_e32 v120, 0xbacd, v52
	v_add_f16_e32 v96, v168, v96
	v_add_f16_e32 v77, v83, v77
	v_sub_f16_e32 v83, v124, v92
	v_mul_f16_e32 v92, 0x3b76, v23
	v_fma_f16 v124, v36, 0x3b76, -v68
	v_add_f16_e32 v120, v128, v120
	v_mul_f16_e32 v128, 0x3722, v31
	v_add_f16_e32 v77, v83, v77
	v_sub_f16_e32 v83, v92, v103
	v_add_f16_e32 v92, v124, v96
	v_mul_f16_e32 v96, 0xb8d2, v17
	v_add_f16_e32 v67, v67, v128
	v_mul_f16_e32 v103, 0x3722, v30
	v_add_f16_e32 v77, v83, v77
	v_mul_f16_sdwa v69, v38, v69 dst_sel:DWORD dst_unused:UNUSED_PAD src0_sel:WORD_1 src1_sel:DWORD
	v_add_f16_e32 v73, v73, v96
	v_add_f16_sdwa v67, v67, v8 dst_sel:DWORD dst_unused:UNUSED_PAD src0_sel:DWORD src1_sel:WORD_1
	v_mul_f16_e32 v96, 0xbbdd, v34
	v_sub_f16_e32 v83, v103, v114
	v_alignbit_b32 v39, v39, v39, 16
	v_fmac_f16_e32 v127, 0xbacd, v18
	v_add_f16_e32 v67, v73, v67
	v_add_f16_e32 v80, v80, v96
	;; [unrolled: 1-line block ×3, first 2 shown]
	v_mul_f16_e32 v83, 0xb461, v37
	v_fma_f16 v96, v40, 0xb8d2, -v69
	v_mul_f16_e32 v73, 0xbacd, v33
	v_add_f16_e32 v67, v80, v67
	v_mul_f16_e32 v80, 0x3722, v18
	v_add_f16_e32 v83, v84, v83
	v_add_f16_e32 v84, v96, v92
	v_mul_f16_e32 v92, 0xb8d2, v29
	v_sub_f16_e32 v73, v73, v118
	v_sub_f16_e32 v61, v80, v61
	v_add_f16_e32 v67, v83, v67
	v_mul_f16_e32 v83, 0xbbdd, v21
	v_sub_f16_e32 v64, v92, v64
	v_add_f16_e32 v73, v73, v77
	v_add_f16_e32 v61, v61, v8
	v_mul_f16_e32 v77, 0x39e9, v48
	v_mul_f16_e32 v80, 0xb8d2, v36
	v_sub_f16_e32 v70, v83, v70
	v_mul_f16_e32 v83, 0xb461, v23
	v_add_f16_e32 v61, v64, v61
	v_add_f16_e32 v77, v89, v77
	v_sub_f16_e32 v80, v80, v119
	v_mul_f16_e32 v64, 0x3b76, v52
	v_fmac_f16_e32 v123, 0x3722, v29
	v_add_f16_e32 v61, v70, v61
	v_sub_f16_e32 v70, v83, v74
	v_add_f16_e32 v67, v77, v67
	v_add_f16_e32 v64, v101, v64
	;; [unrolled: 1-line block ×3, first 2 shown]
	v_mul_f16_e32 v80, 0x2de8, v54
	v_add_f16_e32 v61, v70, v61
	v_mul_f16_e32 v70, 0x39e9, v31
	v_mul_f16_e32 v77, 0x39e9, v30
	v_add_f16_e32 v64, v64, v67
	v_add_f16_e32 v67, v112, v80
	v_mul_f16_e32 v80, 0x2de8, v17
	v_add_f16_e32 v58, v58, v70
	v_sub_f16_e32 v77, v77, v81
	v_mul_f16_e32 v70, 0x3b76, v33
	v_add_f16_e32 v64, v67, v64
	v_add_f16_e32 v60, v60, v80
	v_add_f16_sdwa v58, v58, v8 dst_sel:DWORD dst_unused:UNUSED_PAD src0_sel:DWORD src1_sel:WORD_1
	v_mul_f16_e32 v80, 0xb8d2, v34
	v_add_f16_e32 v61, v77, v61
	v_sub_f16_e32 v70, v70, v86
	v_mul_f16_e32 v67, 0x2de8, v36
	v_add_f16_e32 v58, v60, v58
	v_add_f16_e32 v60, v62, v80
	v_mul_f16_e32 v62, 0xbbdd, v37
	v_add_f16_e32 v61, v70, v61
	v_mul_f16_e32 v70, 0xbacd, v56
	v_mul_f16_e32 v77, 0x39e9, v40
	v_add_f16_e32 v58, v60, v58
	v_add_f16_e32 v60, v66, v62
	v_mul_f16_e32 v62, 0xbacd, v48
	v_sub_f16_e32 v66, v67, v90
	v_add_f16_e32 v67, v121, v70
	v_mul_f16_e32 v70, 0xbacd, v40
	v_add_f16_e32 v58, v60, v58
	v_add_f16_e32 v60, v72, v62
	v_mul_f16_e32 v62, 0xb461, v52
	v_add_f16_e32 v61, v66, v61
	v_sub_f16_e32 v66, v70, v117
	v_mul_f16_e32 v70, 0x3b76, v18
	v_add_f16_e32 v58, v60, v58
	v_add_f16_e32 v60, v75, v62
	v_mul_f16_e32 v62, 0x39e9, v29
	v_add_f16_e32 v61, v66, v61
	v_sub_f16_e32 v53, v70, v53
	v_mul_f16_e32 v66, 0x3722, v21
	v_add_f16_e32 v58, v60, v58
	v_sub_f16_e32 v55, v62, v55
	;; [unrolled: 3-line block ×3, first 2 shown]
	v_sub_f16_e32 v77, v77, v144
	v_mul_f16_e32 v66, 0xb461, v30
	v_add_f16_e32 v60, v79, v62
	v_add_f16_e32 v53, v55, v53
	v_alignbit_b32 v62, v8, v8, 16
	v_add_f16_e32 v70, v77, v73
	v_mul_f16_e32 v55, 0x3b76, v56
	v_add_f16_e32 v58, v60, v58
	v_mul_f16_e32 v60, 0x2de8, v23
	;; [unrolled: 2-line block ×3, first 2 shown]
	v_fma_f16 v73, v31, 0xbacd, -v131
	v_pk_add_f16 v9, v9, v62 op_sel:[0,1] op_sel_hi:[1,0]
	v_sub_f16_e32 v59, v60, v59
	v_add_f16_e32 v55, v88, v55
	v_mul_f16_e32 v60, 0xbacd, v36
	v_sub_f16_e32 v57, v57, v65
	v_add_f16_sdwa v65, v73, v8 dst_sel:DWORD dst_unused:UNUSED_PAD src0_sel:DWORD src1_sel:WORD_1
	v_add_f16_e32 v53, v59, v53
	v_sub_f16_e32 v59, v66, v63
	v_fma_f16 v73, v17, 0x3722, -v145
	v_pk_add_f16 v9, v39, v9
	v_add_f16_e32 v55, v55, v58
	v_mul_f16_e32 v58, 0xbbdd, v40
	v_add_f16_e32 v53, v59, v53
	v_fmac_f16_e32 v122, 0x2de8, v21
	v_pk_add_f16 v9, v15, v9
	v_fmac_f16_e32 v162, 0xb8d2, v18
	v_fmac_f16_e32 v125, 0xb8d2, v23
	v_add_f16_e32 v53, v57, v53
	v_sub_f16_e32 v57, v60, v71
	v_add_f16_e32 v60, v73, v65
	v_fma_f16 v65, v34, 0x2de8, -v142
	v_pk_add_f16 v9, v12, v9
	v_fma_f16 v12, v31, 0xb8d2, -v150
	v_add_f16_e32 v53, v57, v53
	v_sub_f16_e32 v57, v58, v76
	v_add_f16_e32 v39, v65, v60
	v_fma_f16 v58, v37, 0xb8d2, -v149
	v_add_f16_sdwa v12, v12, v8 dst_sel:DWORD dst_unused:UNUSED_PAD src0_sel:DWORD src1_sel:WORD_1
	v_fmac_f16_e32 v160, 0xb461, v29
	v_add_f16_e32 v53, v57, v53
	v_add_f16_e32 v57, v127, v8
	;; [unrolled: 1-line block ×3, first 2 shown]
	v_fma_f16 v39, v48, 0x3b76, -v146
	v_fma_f16 v58, v17, 0xb461, -v151
	v_pk_add_f16 v9, v13, v9
	v_add_f16_e32 v57, v123, v57
	v_fmac_f16_e32 v161, 0x3b76, v21
	v_add_f16_e32 v15, v39, v15
	v_fma_f16 v39, v52, 0xbbdd, -v137
	v_add_f16_e32 v12, v58, v12
	v_fma_f16 v58, v34, 0x3b76, -v152
	;; [unrolled: 2-line block ×4, first 2 shown]
	v_add_f16_e32 v12, v58, v12
	v_add_f16_e32 v58, v162, v8
	v_add_f16_sdwa v31, v31, v8 dst_sel:DWORD dst_unused:UNUSED_PAD src0_sel:DWORD src1_sel:WORD_1
	v_fmac_f16_e32 v173, 0xb461, v18
	v_add_f16_e32 v13, v39, v15
	v_add_f16_e32 v15, v125, v57
	v_fma_f16 v57, v56, 0xb461, -v156
	v_add_f16_e32 v58, v160, v58
	v_pk_add_f16 v9, v10, v9
	v_fma_f16 v34, v34, 0x39e9, -v158
	v_add_f16_e32 v8, v173, v8
	v_add_f16_e32 v13, v57, v13
	;; [unrolled: 1-line block ×3, first 2 shown]
	v_fma_f16 v58, v17, 0xbacd, -v167
	v_fmac_f16_e32 v172, 0xbacd, v29
	v_pk_add_f16 v9, v11, v9
	v_fma_f16 v29, v37, 0x3722, -v138
	v_fmac_f16_e32 v143, 0x39e9, v21
	v_add_f16_e32 v31, v58, v31
	v_add_f16_e32 v8, v172, v8
	v_pk_add_f16 v6, v6, v9
	v_fma_f16 v9, v48, 0xbbdd, -v139
	v_fmac_f16_e32 v174, 0x3722, v23
	v_add_f16_e32 v10, v34, v31
	v_add_f16_e32 v8, v143, v8
	;; [unrolled: 5-line block ×3, first 2 shown]
	v_pk_add_f16 v4, v4, v6
	v_add_f16_e32 v87, v120, v87
	v_mul_f16_e32 v120, 0xb8d2, v54
	v_add_f16_e32 v7, v9, v10
	v_fma_f16 v9, v52, 0x2de8, -v140
	v_add_f16_e32 v64, v67, v64
	v_bfi_b32 v67, 0xffff, v98, v93
	v_add_f16_e32 v12, v39, v12
	v_fma_f16 v39, v48, 0x2de8, -v147
	v_add_f16_e32 v7, v9, v7
	v_fma_f16 v9, v54, 0x3b76, -v141
	v_add_f16_e32 v8, v91, v8
	v_pk_add_f16 v4, v5, v4
	v_fmac_f16_e32 v116, 0x2de8, v33
	v_add_f16_e32 v103, v134, v120
	v_mul_f16_e32 v89, 0x39e9, v56
	v_bfi_b32 v63, 0xffff, v102, v94
	v_add_f16_e32 v12, v39, v12
	v_fma_f16 v39, v52, 0x39e9, -v148
	v_add_f16_e32 v5, v9, v7
	v_fma_f16 v7, v56, 0xb8d2, -v170
	v_pk_add_f16 v2, v2, v4
	v_add_f16_e32 v4, v116, v8
	v_pk_add_f16 v8, v67, v62
	v_add_f16_e32 v87, v103, v87
	v_add_f16_e32 v74, v155, v89
	v_bfi_b32 v66, 0xffff, v107, v97
	v_add_f16_e32 v12, v39, v12
	v_fma_f16 v39, v54, 0xbbdd, -v157
	v_fmac_f16_e32 v165, 0xbacd, v23
	v_pk_add_f16 v2, v3, v2
	v_add_f16_e32 v3, v7, v5
	v_pk_add_f16 v5, v63, v8
	v_add_f16_e32 v72, v74, v87
	v_bfi_b32 v74, 0xffff, v100, v95
	v_add_f16_e32 v12, v39, v12
	v_fma_f16 v39, v56, 0x3722, -v169
	v_add_f16_e32 v57, v165, v57
	v_fmac_f16_e32 v154, 0x2de8, v30
	v_pk_add_f16 v0, v0, v2
	v_and_b32_e32 v2, 0xffff, v47
	v_pk_add_f16 v5, v66, v5
	v_pk_mul_f16 v7, 0xbbdd, v18 op_sel_hi:[0,1]
	v_add_f16_e32 v12, v39, v12
	v_add_f16_e32 v39, v154, v57
	v_fmac_f16_e32 v135, 0x39e9, v33
	v_pk_add_f16 v0, v1, v0
	v_add_lshl_u32 v1, v45, v2, 2
	v_pk_add_f16 v2, v74, v5
	v_pk_fma_f16 v5, 0xb1e1, v14, v7 op_sel:[0,0,1] op_sel_hi:[0,1,0] neg_lo:[0,1,0] neg_hi:[0,1,0]
	v_pk_mul_f16 v8, 0x35c8, v19 op_sel_hi:[0,1]
	v_pk_fma_f16 v7, 0xb1e1, v14, v7 op_sel:[0,0,1] op_sel_hi:[0,1,0]
	v_add_f16_e32 v11, v135, v39
	v_fmac_f16_e32 v132, 0xbbdd, v36
	v_pk_add_f16 v5, v5, v62
	v_pk_fma_f16 v9, 0x3b76, v17, v8 op_sel_hi:[0,1,1] neg_lo:[0,0,1] neg_hi:[0,0,1]
	v_pk_mul_f16 v10, 0xbacd, v21 op_sel_hi:[0,1]
	v_pk_add_f16 v7, v7, v62
	v_pk_fma_f16 v8, 0x3b76, v17, v8 op_sel_hi:[0,1,1]
	v_add_f16_e32 v6, v132, v11
	v_pk_add_f16 v5, v9, v5
	v_pk_fma_f16 v9, 0xb836, v20, v10 op_sel:[0,0,1] op_sel_hi:[0,1,0] neg_lo:[0,1,0] neg_hi:[0,1,0]
	v_pk_mul_f16 v11, 0x39e9, v23 op_sel_hi:[0,1]
	v_pk_add_f16 v7, v8, v7
	v_pk_fma_f16 v8, 0xb836, v20, v10 op_sel:[0,0,1] op_sel_hi:[0,1,0]
	v_bfi_b32 v59, 0xffff, v105, v99
	v_pk_add_f16 v5, v9, v5
	v_pk_fma_f16 v9, 0x3964, v22, v11 op_sel:[0,0,1] op_sel_hi:[0,1,0] neg_lo:[0,1,0] neg_hi:[0,1,0]
	v_pk_mul_f16 v10, 0xb8d2, v30 op_sel_hi:[0,1]
	v_pk_add_f16 v7, v8, v7
	v_pk_fma_f16 v8, 0x3964, v22, v11 op_sel:[0,0,1] op_sel_hi:[0,1,0]
	v_bfi_b32 v75, 0xffff, v108, v104
	v_pk_add_f16 v2, v59, v2
	v_pk_add_f16 v5, v9, v5
	v_pk_fma_f16 v9, 0xba62, v27, v10 op_sel:[0,0,1] op_sel_hi:[0,1,0] neg_lo:[0,1,0] neg_hi:[0,1,0]
	v_pk_mul_f16 v11, 0x3722, v33 op_sel_hi:[0,1]
	v_pk_add_f16 v7, v8, v7
	v_pk_fma_f16 v8, 0xba62, v27, v10 op_sel:[0,0,1] op_sel_hi:[0,1,0]
	v_fmac_f16_e32 v126, 0x3b76, v30
	v_bfi_b32 v71, 0xffff, v109, v106
	v_pk_add_f16 v2, v75, v2
	v_pk_add_f16 v5, v9, v5
	v_pk_fma_f16 v9, 0x3b29, v32, v11 op_sel:[0,0,1] op_sel_hi:[0,1,0] neg_lo:[0,1,0] neg_hi:[0,1,0]
	v_pk_mul_f16 v14, 0xb461, v36 op_sel_hi:[0,1]
	v_pk_add_f16 v7, v8, v7
	v_pk_fma_f16 v8, 0x3b29, v32, v11 op_sel:[0,0,1] op_sel_hi:[0,1,0]
	v_add_f16_e32 v15, v126, v15
	v_fmac_f16_e32 v129, 0xbbdd, v33
	v_bfi_b32 v60, 0xffff, v111, v110
	v_pk_add_f16 v2, v71, v2
	v_pk_add_f16 v5, v9, v5
	v_pk_fma_f16 v9, 0xbbb2, v35, v14 op_sel:[0,0,1] op_sel_hi:[0,1,0] neg_lo:[0,1,0] neg_hi:[0,1,0]
	v_pk_mul_f16 v11, 0x2de8, v40 op_sel_hi:[0,1]
	v_pk_add_f16 v7, v8, v7
	v_pk_fma_f16 v8, 0xbbb2, v35, v14 op_sel:[0,0,1] op_sel_hi:[0,1,0]
	v_add_f16_e32 v15, v129, v15
	v_fmac_f16_e32 v133, 0x39e9, v36
	v_fmac_f16_e32 v68, 0x3b76, v36
	v_pk_add_f16 v2, v60, v2
	v_pk_add_f16 v5, v9, v5
	v_pk_fma_f16 v9, 0x3bf7, v38, v11 op_sel:[0,0,1] op_sel_hi:[0,1,0] neg_lo:[0,1,0] neg_hi:[0,1,0]
	v_pk_add_f16 v7, v8, v7
	v_pk_fma_f16 v8, 0x3bf7, v38, v11 op_sel:[0,0,1] op_sel_hi:[0,1,0]
	v_add_f16_e32 v15, v133, v15
	v_fmac_f16_e32 v136, 0xb461, v40
	v_fmac_f16_e32 v130, 0x3722, v40
	v_add_f16_e32 v4, v68, v4
	v_fmac_f16_e32 v69, 0xb8d2, v40
	v_alignbit_b32 v10, v55, v2, 16
	v_pack_b32_f16 v2, v53, v2
	v_pk_add_f16 v5, v9, v5
	v_pk_add_f16 v7, v8, v7
	v_add_f16_e32 v15, v136, v15
	v_add_f16_e32 v6, v130, v6
	v_pk_add_f16 v0, v16, v0
	v_pack_b32_f16 v14, v70, v72
	v_pack_b32_f16 v16, v61, v64
	v_add_f16_e32 v4, v69, v4
	v_pack_b32_f16 v11, v115, v113
	v_pack_b32_f16 v17, v84, v82
	v_pack_b32_f16 v18, v85, v78
	ds_write2_b32 v1, v2, v10 offset0:1 offset1:2
	ds_write2_b32 v1, v16, v14 offset0:3 offset1:4
	;; [unrolled: 1-line block ×3, first 2 shown]
	ds_write2_b32 v1, v0, v18 offset1:7
	v_alignbit_b32 v0, v5, v7, 16
	v_alignbit_b32 v2, v7, v5, 16
	v_pack_b32_f16 v5, v6, v12
	v_pack_b32_f16 v6, v15, v13
	;; [unrolled: 1-line block ×3, first 2 shown]
	v_perm_b32 v4, v42, v28, 0x5040100
	v_perm_b32 v7, v50, v26, 0x5040100
	;; [unrolled: 1-line block ×4, first 2 shown]
	ds_write2_b32 v1, v2, v0 offset0:8 offset1:9
	ds_write2_b32 v1, v6, v5 offset0:10 offset1:11
	;; [unrolled: 1-line block ×4, first 2 shown]
	ds_write_b32 v1, v9 offset:64
.LBB0_7:
	s_or_b32 exec_lo, exec_lo, s4
	v_and_b32_e32 v0, 0xff, v44
	v_mov_b32_e32 v1, 12
	s_load_dwordx4 s[4:7], s[0:1], 0x0
	s_waitcnt lgkmcnt(0)
	s_barrier
	v_mul_lo_u16 v0, 0xf1, v0
	buffer_gl0_inv
	v_add_lshl_u32 v48, v45, v44, 2
	v_cmp_gt_u16_e64 s0, 51, v44
	v_lshrrev_b16 v3, 12, v0
	v_add_nc_u32_e32 v17, 0x400, v48
	v_add_nc_u32_e32 v18, 0x600, v48
	v_add_nc_u32_e32 v16, 0x800, v48
	v_mul_lo_u16 v0, v3, 17
	v_sub_nc_u16 v2, v44, v0
	v_mul_u32_u24_sdwa v0, v2, v1 dst_sel:DWORD dst_unused:UNUSED_PAD src0_sel:BYTE_0 src1_sel:DWORD
	v_lshlrev_b32_e32 v0, 2, v0
	s_clause 0x2
	global_load_dwordx4 v[12:15], v0, s[2:3]
	global_load_dwordx4 v[8:11], v0, s[2:3] offset:16
	global_load_dwordx4 v[4:7], v0, s[2:3] offset:32
	ds_read2_b32 v[0:1], v48 offset1:85
	ds_read2_b32 v[31:32], v48 offset0:170 offset1:255
	ds_read_b32 v40, v48 offset:4080
	ds_read2_b32 v[33:34], v17 offset0:84 offset1:169
	v_add_nc_u32_e32 v17, 0xc00, v48
	ds_read2_b32 v[52:53], v18 offset0:126 offset1:211
	ds_read2_b32 v[54:55], v16 offset0:168 offset1:253
	;; [unrolled: 1-line block ×3, first 2 shown]
	s_waitcnt vmcnt(0) lgkmcnt(0)
	s_barrier
	buffer_gl0_inv
	v_lshrrev_b32_e32 v21, 16, v1
	v_lshrrev_b32_e32 v35, 16, v31
	;; [unrolled: 1-line block ×12, first 2 shown]
	v_mul_f16_sdwa v67, v1, v12 dst_sel:DWORD dst_unused:UNUSED_PAD src0_sel:DWORD src1_sel:WORD_1
	v_mul_f16_sdwa v39, v21, v12 dst_sel:DWORD dst_unused:UNUSED_PAD src0_sel:DWORD src1_sel:WORD_1
	;; [unrolled: 1-line block ×5, first 2 shown]
	v_fmac_f16_e32 v67, v21, v12
	v_mul_f16_sdwa v71, v32, v14 dst_sel:DWORD dst_unused:UNUSED_PAD src0_sel:DWORD src1_sel:WORD_1
	v_mul_f16_sdwa v19, v52, v9 dst_sel:DWORD dst_unused:UNUSED_PAD src0_sel:DWORD src1_sel:WORD_1
	;; [unrolled: 1-line block ×3, first 2 shown]
	v_fma_f16 v81, v1, v12, -v39
	v_fmac_f16_e32 v69, v35, v13
	v_fma_f16 v1, v52, v9, -v74
	v_add_f16_sdwa v52, v0, v67 dst_sel:DWORD dst_unused:UNUSED_PAD src0_sel:WORD_1 src1_sel:DWORD
	v_mul_f16_sdwa v70, v38, v14 dst_sel:DWORD dst_unused:UNUSED_PAD src0_sel:DWORD src1_sel:WORD_1
	v_mul_f16_sdwa v37, v33, v15 dst_sel:DWORD dst_unused:UNUSED_PAD src0_sel:DWORD src1_sel:WORD_1
	;; [unrolled: 1-line block ×4, first 2 shown]
	v_fma_f16 v68, v31, v13, -v68
	v_fmac_f16_e32 v71, v38, v14
	v_fma_f16 v31, v40, v7, -v80
	v_add_f16_e32 v40, v0, v81
	v_add_f16_e32 v52, v52, v69
	v_mul_f16_sdwa v72, v59, v15 dst_sel:DWORD dst_unused:UNUSED_PAD src0_sel:DWORD src1_sel:WORD_1
	v_mul_f16_sdwa v73, v60, v8 dst_sel:DWORD dst_unused:UNUSED_PAD src0_sel:DWORD src1_sel:WORD_1
	;; [unrolled: 1-line block ×8, first 2 shown]
	v_fma_f16 v70, v32, v14, -v70
	v_fmac_f16_e32 v37, v59, v15
	v_fmac_f16_e32 v22, v64, v4
	;; [unrolled: 1-line block ×3, first 2 shown]
	v_add_f16_e32 v40, v40, v68
	v_add_f16_e32 v52, v52, v71
	v_mul_f16_sdwa v75, v62, v10 dst_sel:DWORD dst_unused:UNUSED_PAD src0_sel:DWORD src1_sel:WORD_1
	v_mul_f16_sdwa v76, v63, v11 dst_sel:DWORD dst_unused:UNUSED_PAD src0_sel:DWORD src1_sel:WORD_1
	v_mul_f16_sdwa v23, v56, v5 dst_sel:DWORD dst_unused:UNUSED_PAD src0_sel:DWORD src1_sel:WORD_1
	v_fma_f16 v39, v33, v15, -v72
	v_fma_f16 v38, v34, v8, -v73
	v_fmac_f16_e32 v36, v60, v8
	v_fmac_f16_e32 v30, v63, v11
	v_fma_f16 v34, v55, v4, -v77
	v_fma_f16 v33, v56, v5, -v78
	v_fma_f16 v32, v57, v6, -v79
	v_fmac_f16_e32 v27, v66, v6
	v_sub_f16_e32 v55, v81, v31
	v_sub_f16_e32 v56, v67, v29
	v_add_f16_e32 v66, v37, v22
	v_sub_f16_e32 v72, v37, v22
	v_add_f16_e32 v40, v40, v70
	v_add_f16_e32 v37, v52, v37
	v_mul_f16_sdwa v20, v53, v10 dst_sel:DWORD dst_unused:UNUSED_PAD src0_sel:DWORD src1_sel:WORD_1
	v_fmac_f16_e32 v19, v61, v9
	v_fma_f16 v21, v53, v10, -v75
	v_fma_f16 v35, v54, v11, -v76
	v_fmac_f16_e32 v23, v65, v5
	v_add_f16_e32 v53, v81, v31
	v_add_f16_e32 v54, v67, v29
	;; [unrolled: 1-line block ×4, first 2 shown]
	v_sub_f16_e32 v59, v68, v32
	v_sub_f16_e32 v60, v69, v27
	v_add_f16_e32 v65, v39, v34
	v_sub_f16_e32 v67, v39, v34
	v_add_f16_e32 v74, v36, v30
	v_sub_f16_e32 v76, v36, v30
	v_mul_f16_e32 v68, 0xb770, v56
	v_mul_f16_e32 v69, 0xb770, v55
	;; [unrolled: 1-line block ×7, first 2 shown]
	v_add_f16_e32 v39, v40, v39
	v_add_f16_e32 v36, v37, v36
	v_fmac_f16_e32 v20, v62, v10
	v_add_f16_e32 v61, v70, v33
	v_add_f16_e32 v62, v71, v23
	v_sub_f16_e32 v63, v70, v33
	v_sub_f16_e32 v64, v71, v23
	v_add_f16_e32 v73, v38, v35
	v_sub_f16_e32 v75, v38, v35
	v_mul_f16_e32 v81, 0xbb7b, v56
	v_mul_f16_e32 v83, 0xb94e, v56
	;; [unrolled: 1-line block ×12, first 2 shown]
	v_fma_f16 v70, v53, 0x3b15, -v68
	v_fmamk_f16 v71, v54, 0x3b15, v69
	v_fma_f16 v125, v53, 0x388b, -v77
	v_fmamk_f16 v126, v54, 0x388b, v78
	v_fma_f16 v127, v53, 0x2fb7, -v79
	v_fmamk_f16 v128, v54, 0x2fb7, v80
	v_fmac_f16_e32 v79, 0x2fb7, v53
	v_fmamk_f16 v130, v54, 0xb5ac, v82
	v_add_f16_e32 v38, v39, v38
	v_add_f16_e32 v36, v36, v19
	v_mul_f16_e32 v91, 0x394e, v60
	v_mul_f16_e32 v93, 0x3bf1, v60
	;; [unrolled: 1-line block ×8, first 2 shown]
	v_fmac_f16_e32 v68, 0x3b15, v53
	v_fma_f16 v69, v54, 0x3b15, -v69
	v_fmac_f16_e32 v77, 0x388b, v53
	v_fma_f16 v78, v54, 0x388b, -v78
	v_fma_f16 v80, v54, 0x2fb7, -v80
	;; [unrolled: 1-line block ×3, first 2 shown]
	v_fmac_f16_e32 v81, 0xb5ac, v53
	v_fma_f16 v82, v54, 0xb5ac, -v82
	v_fma_f16 v131, v53, 0xb9fd, -v83
	v_fmamk_f16 v132, v54, 0xb9fd, v84
	v_fmac_f16_e32 v83, 0xb9fd, v53
	v_fma_f16 v84, v54, 0xb9fd, -v84
	v_fma_f16 v133, v53, 0xbbc4, -v56
	v_fmamk_f16 v134, v54, 0xbbc4, v55
	;; [unrolled: 4-line block ×3, first 2 shown]
	v_fma_f16 v135, v57, 0xb5ac, -v87
	v_fmamk_f16 v136, v58, 0xb5ac, v88
	v_fma_f16 v137, v57, 0xbbc4, -v89
	v_fmamk_f16 v138, v58, 0xbbc4, v90
	v_fmac_f16_e32 v89, 0xbbc4, v57
	v_fmamk_f16 v140, v58, 0xb9fd, v92
	v_add_f16_e32 v40, v0, v70
	v_add_f16_sdwa v52, v0, v71 dst_sel:DWORD dst_unused:UNUSED_PAD src0_sel:WORD_1 src1_sel:DWORD
	v_add_f16_e32 v70, v0, v125
	v_add_f16_sdwa v71, v0, v126 dst_sel:DWORD dst_unused:UNUSED_PAD src0_sel:WORD_1 src1_sel:DWORD
	v_add_f16_sdwa v126, v0, v128 dst_sel:DWORD dst_unused:UNUSED_PAD src0_sel:WORD_1 src1_sel:DWORD
	v_add_f16_e32 v79, v0, v79
	v_add_f16_sdwa v128, v0, v130 dst_sel:DWORD dst_unused:UNUSED_PAD src0_sel:WORD_1 src1_sel:DWORD
	v_add_f16_e32 v38, v38, v1
	v_add_f16_e32 v36, v36, v20
	v_mul_f16_e32 v95, 0xbbf1, v64
	v_mul_f16_e32 v97, 0xb3a8, v64
	;; [unrolled: 1-line block ×11, first 2 shown]
	v_fmac_f16_e32 v85, 0x388b, v57
	v_fma_f16 v86, v58, 0x388b, -v86
	v_fmac_f16_e32 v87, 0xb5ac, v57
	v_fma_f16 v88, v58, 0xb5ac, -v88
	v_fma_f16 v90, v58, 0xbbc4, -v90
	;; [unrolled: 1-line block ×3, first 2 shown]
	v_fmac_f16_e32 v91, 0xb9fd, v57
	v_fma_f16 v92, v58, 0xb9fd, -v92
	v_fma_f16 v141, v57, 0x2fb7, -v93
	v_fmac_f16_e32 v93, 0x2fb7, v57
	v_fma_f16 v143, v57, 0x3b15, -v60
	v_fmamk_f16 v144, v58, 0x3b15, v59
	v_fmac_f16_e32 v60, 0x3b15, v57
	v_fma_f16 v57, v58, 0x3b15, -v59
	v_fmamk_f16 v59, v62, 0x2fb7, v96
	v_fmamk_f16 v148, v62, 0xb5ac, v100
	;; [unrolled: 1-line block ×3, first 2 shown]
	v_add_f16_e32 v68, v0, v68
	v_add_f16_sdwa v69, v0, v69 dst_sel:DWORD dst_unused:UNUSED_PAD src0_sel:WORD_1 src1_sel:DWORD
	v_add_f16_e32 v77, v0, v77
	v_add_f16_sdwa v78, v0, v78 dst_sel:DWORD dst_unused:UNUSED_PAD src0_sel:WORD_1 src1_sel:DWORD
	;; [unrolled: 2-line block ×3, first 2 shown]
	v_add_f16_e32 v127, v0, v129
	v_add_f16_e32 v81, v0, v81
	v_add_f16_sdwa v82, v0, v82 dst_sel:DWORD dst_unused:UNUSED_PAD src0_sel:WORD_1 src1_sel:DWORD
	v_add_f16_e32 v129, v0, v131
	v_add_f16_sdwa v130, v0, v132 dst_sel:DWORD dst_unused:UNUSED_PAD src0_sel:WORD_1 src1_sel:DWORD
	;; [unrolled: 2-line block ×5, first 2 shown]
	v_add_f16_e32 v37, v54, v40
	v_add_f16_e32 v39, v55, v52
	;; [unrolled: 1-line block ×9, first 2 shown]
	v_mul_f16_e32 v105, 0xbb7b, v72
	v_mul_f16_e32 v107, 0x394e, v72
	;; [unrolled: 1-line block ×7, first 2 shown]
	v_fmamk_f16 v142, v58, 0x2fb7, v94
	v_fma_f16 v94, v58, 0x2fb7, -v94
	v_fma_f16 v58, v61, 0x2fb7, -v95
	v_fmac_f16_e32 v95, 0x2fb7, v61
	v_fma_f16 v145, v61, 0xbbc4, -v97
	v_fmac_f16_e32 v97, 0xbbc4, v61
	;; [unrolled: 2-line block ×5, first 2 shown]
	v_fma_f16 v153, v61, 0xb9fd, -v64
	v_fmamk_f16 v154, v62, 0xb9fd, v63
	v_fmac_f16_e32 v64, 0xb9fd, v61
	v_fma_f16 v61, v62, 0xb9fd, -v63
	v_fmamk_f16 v63, v66, 0xb5ac, v106
	v_fmamk_f16 v160, v66, 0x2fb7, v112
	v_add_f16_e32 v40, v85, v68
	v_add_f16_e32 v52, v86, v69
	;; [unrolled: 1-line block ×16, first 2 shown]
	v_mul_f16_e32 v108, 0x394e, v67
	v_mul_f16_e32 v110, 0x3770, v67
	;; [unrolled: 1-line block ×10, first 2 shown]
	v_fma_f16 v96, v62, 0x2fb7, -v96
	v_fmamk_f16 v146, v62, 0xbbc4, v98
	v_fma_f16 v98, v62, 0xbbc4, -v98
	v_fma_f16 v100, v62, 0xb5ac, -v100
	;; [unrolled: 1-line block ×3, first 2 shown]
	v_fmamk_f16 v152, v62, 0x388b, v104
	v_fma_f16 v104, v62, 0x388b, -v104
	v_fma_f16 v62, v65, 0xb5ac, -v105
	;; [unrolled: 1-line block ×5, first 2 shown]
	v_fmamk_f16 v170, v74, 0xbbc4, v122
	v_add_f16_e32 v85, v142, v130
	v_add_f16_e32 v83, v93, v83
	;; [unrolled: 1-line block ×13, first 2 shown]
	v_mul_f16_e32 v116, 0xb94e, v75
	v_mul_f16_e32 v118, 0x3bf1, v75
	;; [unrolled: 1-line block ×5, first 2 shown]
	v_fmac_f16_e32 v105, 0xb5ac, v65
	v_fma_f16 v106, v66, 0xb5ac, -v106
	v_fma_f16 v155, v65, 0xb9fd, -v107
	v_fmamk_f16 v156, v66, 0xb9fd, v108
	v_fmac_f16_e32 v107, 0xb9fd, v65
	v_fma_f16 v108, v66, 0xb9fd, -v108
	v_fma_f16 v157, v65, 0x3b15, -v109
	v_fmamk_f16 v158, v66, 0x3b15, v110
	v_fmac_f16_e32 v109, 0x3b15, v65
	v_fma_f16 v110, v66, 0x3b15, -v110
	v_fmac_f16_e32 v111, 0x2fb7, v65
	v_fma_f16 v112, v66, 0x2fb7, -v112
	v_fmamk_f16 v162, v66, 0xbbc4, v114
	v_fmac_f16_e32 v113, 0xbbc4, v65
	v_fma_f16 v114, v66, 0xbbc4, -v114
	v_fmamk_f16 v164, v66, 0x388b, v67
	v_fmac_f16_e32 v72, 0x388b, v65
	v_fma_f16 v65, v66, 0x388b, -v67
	v_fma_f16 v66, v73, 0xb9fd, -v115
	v_add_f16_e32 v56, v60, v56
	v_add_f16_e32 v60, v99, v71
	;; [unrolled: 1-line block ×14, first 2 shown]
	v_fma_f16 v27, v73, 0xb5ac, -v76
	v_sub_f16_e32 v63, v19, v20
	v_fmamk_f16 v67, v74, 0xb9fd, v116
	v_add_f16_e32 v52, v96, v52
	v_add_f16_e32 v70, v162, v79
	;; [unrolled: 1-line block ×6, first 2 shown]
	v_fmamk_f16 v29, v74, 0xb5ac, v75
	v_add_f16_e32 v65, v27, v78
	v_add_f16_e32 v66, v1, v21
	v_mul_f16_e32 v27, 0xb3a8, v63
	v_sub_f16_e32 v1, v1, v21
	v_fma_f16 v116, v74, 0xb9fd, -v116
	v_add_f16_e32 v40, v95, v40
	v_add_f16_e32 v53, v145, v53
	v_add_f16_e32 v54, v146, v54
	v_add_f16_e32 v55, v97, v55
	v_add_f16_e32 v57, v98, v68
	v_add_f16_e32 v68, v100, v77
	v_add_f16_e32 v77, v102, v81
	v_add_f16_e32 v56, v64, v56
	v_add_f16_e32 v52, v106, v52
	v_add_f16_e32 v37, v67, v39
	v_add_f16_e32 v30, v30, v32
	v_add_f16_e32 v67, v29, v79
	v_fma_f16 v21, v74, 0xb5ac, -v75
	v_fma_f16 v29, v66, 0xbbc4, -v27
	v_add_f16_e32 v19, v19, v20
	v_mul_f16_e32 v20, 0xb3a8, v1
	v_fmac_f16_e32 v115, 0xb9fd, v73
	v_fma_f16 v165, v73, 0x2fb7, -v117
	v_fmamk_f16 v166, v74, 0x2fb7, v118
	v_fmac_f16_e32 v117, 0x2fb7, v73
	v_fma_f16 v118, v74, 0x2fb7, -v118
	v_fma_f16 v122, v74, 0xbbc4, -v122
	v_add_f16_e32 v40, v105, v40
	v_add_f16_e32 v53, v155, v53
	v_add_f16_e32 v54, v156, v54
	v_add_f16_e32 v55, v107, v55
	v_add_f16_e32 v57, v108, v57
	v_add_f16_e32 v61, v110, v68
	v_add_f16_e32 v68, v112, v77
	v_add_f16_e32 v56, v72, v56
	v_add_f16_e32 v39, v116, v52
	v_add_f16_e32 v31, v30, v31
	v_fmac_f16_e32 v76, 0xb5ac, v73
	v_add_f16_e32 v0, v21, v0
	v_add_f16_e32 v21, v29, v36
	v_mul_f16_e32 v29, 0x3770, v63
	v_fmamk_f16 v30, v19, 0xbbc4, v20
	v_fma_f16 v20, v19, 0xbbc4, -v20
	v_mul_f16_e32 v36, 0x3770, v1
	v_fma_f16 v167, v73, 0x388b, -v119
	v_fmac_f16_e32 v119, 0x388b, v73
	v_add_f16_e32 v58, v157, v58
	v_add_f16_e32 v60, v109, v60
	;; [unrolled: 1-line block ×9, first 2 shown]
	v_fmac_f16_e32 v27, 0xbbc4, v66
	v_fma_f16 v56, v66, 0x3b15, -v29
	v_add_f16_e32 v55, v20, v39
	v_fmamk_f16 v20, v19, 0x3b15, v36
	v_fmac_f16_e32 v29, 0x3b15, v66
	v_mul_f16_e32 v39, 0xb94e, v63
	v_fma_f16 v36, v19, 0x3b15, -v36
	v_fmamk_f16 v168, v74, 0x388b, v120
	v_fma_f16 v120, v74, 0x388b, -v120
	v_fma_f16 v169, v73, 0xbbc4, -v121
	v_add_f16_e32 v59, v158, v59
	v_add_f16_e32 v57, v167, v58
	;; [unrolled: 1-line block ×6, first 2 shown]
	v_mul_f16_e32 v40, 0xb94e, v1
	v_add_f16_e32 v30, v29, v53
	v_fma_f16 v29, v66, 0xb9fd, -v39
	v_add_f16_e32 v56, v36, v54
	v_mul_f16_e32 v36, 0x3a95, v63
	v_fmac_f16_e32 v39, 0xb9fd, v66
	v_add_f16_e32 v35, v168, v59
	v_add_f16_e32 v59, v120, v61
	;; [unrolled: 1-line block ×4, first 2 shown]
	v_fmamk_f16 v52, v19, 0xb9fd, v40
	v_add_f16_e32 v54, v29, v57
	v_fma_f16 v40, v19, 0xb9fd, -v40
	v_fma_f16 v53, v66, 0x388b, -v36
	v_add_f16_e32 v29, v39, v58
	v_mul_f16_e32 v39, 0x3a95, v1
	v_fmac_f16_e32 v121, 0xbbc4, v73
	v_fma_f16 v171, v73, 0x3b15, -v123
	v_add_f16_e32 v64, v111, v71
	v_add_f16_e32 v57, v40, v59
	;; [unrolled: 1-line block ×3, first 2 shown]
	v_mul_f16_e32 v40, 0xbb7b, v63
	v_fmamk_f16 v53, v19, 0x388b, v39
	v_add_f16_e32 v84, v94, v84
	v_fmamk_f16 v172, v74, 0x3b15, v124
	v_add_f16_e32 v34, v121, v64
	v_add_f16_e32 v60, v171, v69
	;; [unrolled: 1-line block ×3, first 2 shown]
	v_mul_f16_e32 v52, 0xbb7b, v1
	v_fmac_f16_e32 v36, 0x388b, v66
	v_fma_f16 v58, v66, 0xb5ac, -v40
	v_add_f16_e32 v33, v53, v33
	v_mov_b32_e32 v53, 0xdd
	v_add_f16_e32 v81, v104, v84
	v_add_f16_e32 v61, v172, v70
	v_fma_f16 v39, v19, 0x388b, -v39
	v_fmamk_f16 v59, v19, 0xb5ac, v52
	v_add_f16_e32 v34, v36, v34
	v_add_f16_e32 v36, v58, v60
	v_mul_f16_e32 v58, 0x3bf1, v63
	v_mul_f16_e32 v1, 0x3bf1, v1
	v_mul_u32_u24_sdwa v3, v3, v53 dst_sel:DWORD dst_unused:UNUSED_PAD src0_sel:WORD_0 src1_sel:DWORD
	v_fmac_f16_e32 v123, 0x3b15, v73
	v_fma_f16 v124, v74, 0x3b15, -v124
	v_add_f16_e32 v71, v113, v80
	v_add_f16_e32 v77, v114, v81
	;; [unrolled: 1-line block ×4, first 2 shown]
	v_fma_f16 v53, v66, 0x2fb7, -v58
	v_fmamk_f16 v59, v19, 0x2fb7, v1
	v_fma_f16 v1, v19, 0x2fb7, -v1
	v_add_nc_u32_sdwa v2, v3, v2 dst_sel:DWORD dst_unused:UNUSED_PAD src0_sel:DWORD src1_sel:BYTE_0
	v_fmac_f16_e32 v58, 0x2fb7, v66
	v_add_f16_e32 v62, v123, v71
	v_add_f16_e32 v64, v124, v77
	v_fmac_f16_e32 v40, 0xb5ac, v66
	v_fma_f16 v52, v19, 0xb5ac, -v52
	v_add_f16_e32 v3, v53, v65
	v_add_f16_e32 v0, v1, v0
	v_add_lshl_u32 v53, v45, v2, 2
	v_pack_b32_f16 v1, v31, v22
	v_pack_b32_f16 v2, v21, v37
	v_add_f16_e32 v19, v59, v67
	v_add_f16_e32 v58, v58, v68
	v_pack_b32_f16 v20, v38, v20
	v_pack_b32_f16 v21, v54, v35
	v_add_f16_e32 v40, v40, v62
	v_add_f16_e32 v52, v52, v64
	ds_write2_b32 v53, v1, v2 offset1:17
	ds_write2_b32 v53, v20, v21 offset0:34 offset1:51
	v_pack_b32_f16 v1, v23, v33
	v_pack_b32_f16 v2, v36, v39
	;; [unrolled: 1-line block ×9, first 2 shown]
	ds_write2_b32 v53, v1, v2 offset0:68 offset1:85
	ds_write2_b32 v53, v3, v0 offset0:102 offset1:119
	;; [unrolled: 1-line block ×4, first 2 shown]
	ds_write_b32 v53, v23 offset:816
	v_add_nc_u32_e32 v0, 0x200, v48
	s_waitcnt lgkmcnt(0)
	s_barrier
	buffer_gl0_inv
	ds_read2_b32 v[31:32], v48 offset1:85
	ds_read2_b32 v[33:34], v0 offset0:93 offset1:178
	ds_read2_b32 v[35:36], v18 offset0:58 offset1:143
	;; [unrolled: 1-line block ×4, first 2 shown]
	s_and_saveexec_b32 s1, s0
	s_cbranch_execz .LBB0_9
; %bb.8:
	v_add_nc_u32_e32 v0, 0x280, v48
	v_add_nc_u32_e32 v1, 0x980, v48
	ds_read2_b32 v[29:30], v0 offset0:10 offset1:231
	ds_read2_b32 v[27:28], v1 offset0:4 offset1:225
	ds_read_b32 v25, v48 offset:4216
	s_waitcnt lgkmcnt(2)
	v_lshrrev_b32_e32 v57, 16, v29
	v_lshrrev_b32_e32 v56, 16, v30
	s_waitcnt lgkmcnt(1)
	v_lshrrev_b32_e32 v55, 16, v27
	v_lshrrev_b32_e32 v42, 16, v28
	s_waitcnt lgkmcnt(0)
	v_lshrrev_b32_e32 v41, 16, v25
.LBB0_9:
	s_or_b32 exec_lo, exec_lo, s1
	v_lshlrev_b32_e32 v0, 4, v44
	s_waitcnt lgkmcnt(3)
	v_lshrrev_b32_e32 v60, 16, v33
	s_waitcnt lgkmcnt(2)
	v_lshrrev_b32_e32 v61, 16, v35
	;; [unrolled: 2-line block ×4, first 2 shown]
	global_load_dwordx4 v[20:23], v0, s[2:3] offset:816
	v_add_nc_u32_e32 v0, 0x550, v0
	v_lshrrev_b32_e32 v64, 16, v34
	v_lshrrev_b32_e32 v65, 16, v36
	;; [unrolled: 1-line block ×4, first 2 shown]
	global_load_dwordx4 v[16:19], v0, s[2:3] offset:816
	v_add_co_u32 v0, s1, 0xaa, v44
	v_add_co_ci_u32_e64 v1, null, 0, 0, s1
	v_add_co_u32 v2, s1, 0xffffffcd, v44
	v_add_co_ci_u32_e64 v3, null, 0, -1, s1
	v_lshrrev_b32_e32 v59, 16, v31
	v_cndmask_b32_e64 v0, v2, v0, s0
	v_lshrrev_b32_e32 v58, 16, v32
	v_cndmask_b32_e64 v1, v3, v1, s0
	v_lshl_add_u32 v52, v44, 2, v46
	v_add_nc_u32_e32 v54, v43, v46
	v_lshlrev_b64 v[0:1], 4, v[0:1]
	v_add_nc_u32_e32 v72, 0x300, v52
	v_add_nc_u32_e32 v73, 0xa00, v52
	;; [unrolled: 1-line block ×4, first 2 shown]
	v_add_co_u32 v0, s1, s2, v0
	v_add_co_ci_u32_e64 v1, s1, s3, v1, s1
	global_load_dwordx4 v[0:3], v[0:1], off offset:816
	s_waitcnt vmcnt(2)
	v_mul_f16_sdwa v68, v60, v20 dst_sel:DWORD dst_unused:UNUSED_PAD src0_sel:DWORD src1_sel:WORD_1
	v_mul_f16_sdwa v69, v33, v20 dst_sel:DWORD dst_unused:UNUSED_PAD src0_sel:DWORD src1_sel:WORD_1
	;; [unrolled: 1-line block ×8, first 2 shown]
	v_fma_f16 v33, v33, v20, -v68
	v_fmac_f16_e32 v69, v60, v20
	v_fma_f16 v35, v35, v21, -v70
	v_fmac_f16_e32 v71, v61, v21
	;; [unrolled: 2-line block ×4, first 2 shown]
	s_waitcnt vmcnt(1)
	v_mul_f16_sdwa v60, v64, v16 dst_sel:DWORD dst_unused:UNUSED_PAD src0_sel:DWORD src1_sel:WORD_1
	v_mul_f16_sdwa v62, v34, v16 dst_sel:DWORD dst_unused:UNUSED_PAD src0_sel:DWORD src1_sel:WORD_1
	;; [unrolled: 1-line block ×8, first 2 shown]
	v_fma_f16 v60, v34, v16, -v60
	v_fmac_f16_e32 v62, v64, v16
	v_fma_f16 v36, v36, v17, -v61
	v_fmac_f16_e32 v68, v65, v17
	;; [unrolled: 2-line block ×3, first 2 shown]
	v_add_f16_e32 v34, v31, v33
	v_sub_f16_e32 v61, v33, v35
	v_sub_f16_e32 v63, v39, v37
	v_add_f16_e32 v64, v33, v39
	v_sub_f16_e32 v67, v35, v33
	v_sub_f16_e32 v80, v37, v39
	v_add_f16_e32 v82, v71, v77
	v_add_f16_e32 v86, v69, v79
	v_fmac_f16_e32 v70, v66, v18
	v_fma_f16 v76, v40, v19, -v76
	v_add_f16_e32 v38, v35, v37
	v_sub_f16_e32 v66, v71, v77
	v_add_f16_e32 v81, v59, v69
	v_sub_f16_e32 v83, v33, v39
	v_sub_f16_e32 v84, v35, v37
	;; [unrolled: 1-line block ×4, first 2 shown]
	v_add_f16_e32 v88, v34, v35
	v_add_f16_e32 v89, v61, v63
	v_fma_f16 v34, -0.5, v64, v31
	v_add_f16_e32 v67, v67, v80
	v_fma_f16 v61, -0.5, v82, v59
	v_fmac_f16_e32 v59, -0.5, v86
	v_add_f16_e32 v80, v32, v60
	s_waitcnt vmcnt(0)
	v_mul_f16_sdwa v101, v56, v0 dst_sel:DWORD dst_unused:UNUSED_PAD src0_sel:DWORD src1_sel:WORD_1
	v_mul_f16_sdwa v102, v30, v0 dst_sel:DWORD dst_unused:UNUSED_PAD src0_sel:DWORD src1_sel:WORD_1
	;; [unrolled: 1-line block ×8, first 2 shown]
	v_sub_f16_e32 v40, v69, v79
	v_sub_f16_e32 v69, v71, v69
	;; [unrolled: 1-line block ×3, first 2 shown]
	v_fma_f16 v35, -0.5, v38, v31
	v_add_f16_e32 v38, v81, v71
	v_add_f16_e32 v71, v33, v85
	;; [unrolled: 1-line block ×3, first 2 shown]
	v_sub_f16_e32 v86, v60, v36
	v_sub_f16_e32 v91, v36, v60
	;; [unrolled: 1-line block ×3, first 2 shown]
	v_add_f16_e32 v93, v58, v62
	v_add_f16_e32 v94, v68, v70
	v_sub_f16_e32 v96, v36, v65
	v_add_f16_e32 v98, v62, v78
	v_add_f16_e32 v37, v88, v37
	v_fmamk_f16 v33, v66, 0xbb9c, v34
	v_fmac_f16_e32 v34, 0x3b9c, v66
	v_fmamk_f16 v63, v84, 0x3b9c, v59
	v_fmac_f16_e32 v59, 0xbb9c, v84
	v_add_f16_e32 v36, v80, v36
	v_fma_f16 v88, v30, v0, -v101
	v_fmac_f16_e32 v102, v56, v0
	v_fma_f16 v27, v27, v1, -v103
	v_fmac_f16_e32 v104, v55, v1
	;; [unrolled: 2-line block ×4, first 2 shown]
	v_add_f16_e32 v90, v60, v76
	v_add_f16_e32 v69, v69, v87
	v_sub_f16_e32 v82, v62, v78
	v_sub_f16_e32 v85, v68, v70
	;; [unrolled: 1-line block ×7, first 2 shown]
	v_add_f16_e32 v77, v38, v77
	v_fmamk_f16 v64, v83, 0xbb9c, v61
	v_fmac_f16_e32 v61, 0x3b9c, v83
	v_fma_f16 v38, -0.5, v81, v32
	v_add_f16_e32 v81, v91, v92
	v_add_f16_e32 v68, v93, v68
	v_fma_f16 v62, -0.5, v94, v58
	v_fmac_f16_e32 v58, -0.5, v98
	v_fmac_f16_e32 v33, 0x38b4, v40
	v_fmac_f16_e32 v34, 0xb8b4, v40
	;; [unrolled: 1-line block ×4, first 2 shown]
	v_add_f16_e32 v25, v36, v65
	v_add_f16_e32 v41, v29, v88
	;; [unrolled: 1-line block ×6, first 2 shown]
	v_fmamk_f16 v31, v40, 0x3b9c, v35
	v_fmac_f16_e32 v35, 0xbb9c, v40
	v_fmac_f16_e32 v32, -0.5, v90
	v_sub_f16_e32 v100, v70, v78
	v_add_f16_e32 v80, v86, v87
	v_add_f16_e32 v86, v60, v97
	;; [unrolled: 1-line block ×4, first 2 shown]
	v_fmac_f16_e32 v64, 0xb8b4, v84
	v_fmac_f16_e32 v61, 0x38b4, v84
	v_add_f16_e32 v37, v68, v70
	v_sub_f16_e32 v56, v102, v108
	v_sub_f16_e32 v77, v104, v106
	;; [unrolled: 1-line block ×5, first 2 shown]
	v_add_f16_e32 v91, v57, v102
	v_sub_f16_e32 v88, v88, v55
	v_sub_f16_e32 v93, v27, v28
	v_fmac_f16_e32 v33, 0x34f2, v67
	v_fmac_f16_e32 v34, 0x34f2, v67
	v_add_f16_e32 v36, v25, v76
	v_add_f16_e32 v27, v41, v27
	v_fma_f16 v25, -0.5, v42, v29
	v_fmac_f16_e32 v29, -0.5, v83
	v_fma_f16 v67, -0.5, v92, v57
	v_fmac_f16_e32 v57, -0.5, v98
	v_fmac_f16_e32 v31, 0x38b4, v66
	v_fmac_f16_e32 v35, 0xb8b4, v66
	v_fmamk_f16 v39, v82, 0x3b9c, v38
	v_fmamk_f16 v40, v85, 0xbb9c, v32
	;; [unrolled: 1-line block ×4, first 2 shown]
	v_fmac_f16_e32 v38, 0xbb9c, v82
	v_fmac_f16_e32 v32, 0x3b9c, v85
	;; [unrolled: 1-line block ×4, first 2 shown]
	v_add_f16_e32 v87, v99, v100
	v_sub_f16_e32 v90, v28, v55
	v_sub_f16_e32 v94, v102, v104
	;; [unrolled: 1-line block ×5, first 2 shown]
	v_fmac_f16_e32 v63, 0x34f2, v69
	v_fmac_f16_e32 v59, 0x34f2, v69
	v_add_f16_e32 v76, v70, v79
	v_add_f16_e32 v41, v91, v104
	v_add_f16_e32 v27, v27, v28
	v_fmamk_f16 v42, v56, 0x3b9c, v25
	v_fmac_f16_e32 v25, 0xbb9c, v56
	v_fmamk_f16 v28, v77, 0xbb9c, v29
	v_fmac_f16_e32 v29, 0x3b9c, v77
	;; [unrolled: 2-line block ×4, first 2 shown]
	v_fmac_f16_e32 v39, 0x38b4, v85
	v_fmac_f16_e32 v40, 0x38b4, v82
	;; [unrolled: 1-line block ×11, first 2 shown]
	v_add_f16_e32 v68, v37, v78
	v_add_f16_e32 v78, v84, v90
	;; [unrolled: 1-line block ×5, first 2 shown]
	v_fmac_f16_e32 v42, 0x38b4, v77
	v_fmac_f16_e32 v25, 0xb8b4, v77
	;; [unrolled: 1-line block ×17, first 2 shown]
	v_pack_b32_f16 v80, v31, v64
	v_pack_b32_f16 v81, v33, v63
	v_add_f16_e32 v41, v27, v55
	v_add_f16_e32 v71, v71, v108
	v_fmac_f16_e32 v42, 0x34f2, v76
	v_fmac_f16_e32 v25, 0x34f2, v76
	;; [unrolled: 1-line block ×8, first 2 shown]
	v_pack_b32_f16 v83, v34, v59
	v_pack_b32_f16 v84, v35, v61
	;; [unrolled: 1-line block ×8, first 2 shown]
	ds_write2_b32 v72, v80, v81 offset0:29 offset1:250
	ds_write2_b32 v73, v83, v84 offset0:23 offset1:244
	ds_write2_b32 v52, v37, v85 offset1:85
	ds_write2_b32 v74, v86, v87 offset0:18 offset1:239
	ds_write2_b32 v75, v89, v90 offset0:12 offset1:233
	s_and_saveexec_b32 s1, s0
	s_cbranch_execz .LBB0_11
; %bb.10:
	v_perm_b32 v27, v71, v41, 0x5040100
	v_perm_b32 v37, v70, v42, 0x5040100
	v_add_nc_u32_e32 v55, 0x280, v52
	v_perm_b32 v56, v69, v28, 0x5040100
	v_perm_b32 v72, v57, v29, 0x5040100
	v_add_nc_u32_e32 v73, 0x980, v52
	v_perm_b32 v74, v67, v25, 0x5040100
	ds_write2_b32 v55, v27, v37 offset0:10 offset1:231
	ds_write2_b32 v73, v56, v72 offset0:4 offset1:225
	ds_write_b32 v52, v74 offset:4216
.LBB0_11:
	s_or_b32 exec_lo, exec_lo, s1
	s_waitcnt lgkmcnt(0)
	s_barrier
	buffer_gl0_inv
	s_and_saveexec_b32 s2, vcc_lo
	s_cbranch_execz .LBB0_13
; %bb.12:
	v_add_co_u32 v27, s1, s8, v43
	v_add_co_ci_u32_e64 v37, null, s9, 0, s1
	v_add_nc_u32_e32 v101, 0x400, v52
	v_add_co_u32 v55, s1, 0x1000, v27
	v_add_co_ci_u32_e64 v56, s1, 0, v37, s1
	v_add_co_u32 v72, s1, 0x1144, v27
	v_add_co_ci_u32_e64 v73, s1, 0, v37, s1
	v_add_nc_u32_e32 v102, 0x800, v52
	s_clause 0x5
	global_load_dword v86, v[55:56], off offset:324
	global_load_dword v87, v[72:73], off offset:260
	;; [unrolled: 1-line block ×6, first 2 shown]
	v_add_co_u32 v55, s1, 0x1800, v27
	v_add_co_ci_u32_e64 v56, s1, 0, v37, s1
	s_clause 0x6
	global_load_dword v92, v[72:73], off offset:1560
	global_load_dword v93, v[72:73], off offset:1820
	;; [unrolled: 1-line block ×7, first 2 shown]
	v_add_co_u32 v72, s1, 0x2000, v27
	v_add_co_ci_u32_e64 v73, s1, 0, v37, s1
	s_clause 0x3
	global_load_dword v27, v[55:56], off offset:1656
	global_load_dword v37, v[55:56], off offset:1916
	;; [unrolled: 1-line block ×4, first 2 shown]
	ds_read2_b32 v[55:56], v52 offset1:65
	ds_read2_b32 v[72:73], v52 offset0:130 offset1:195
	v_add_nc_u32_e32 v104, 0xc00, v52
	ds_read_b32 v103, v52 offset:4160
	ds_read2_b32 v[74:75], v101 offset0:4 offset1:69
	ds_read2_b32 v[76:77], v101 offset0:134 offset1:199
	;; [unrolled: 1-line block ×6, first 2 shown]
	s_waitcnt lgkmcnt(8)
	v_lshrrev_b32_e32 v105, 16, v55
	v_lshrrev_b32_e32 v106, 16, v56
	s_waitcnt lgkmcnt(7)
	v_lshrrev_b32_e32 v107, 16, v72
	v_lshrrev_b32_e32 v108, 16, v73
	;; [unrolled: 3-line block ×5, first 2 shown]
	v_lshrrev_b32_e32 v109, 16, v103
	s_waitcnt lgkmcnt(2)
	v_lshrrev_b32_e32 v116, 16, v80
	v_lshrrev_b32_e32 v117, 16, v81
	s_waitcnt lgkmcnt(1)
	v_lshrrev_b32_e32 v118, 16, v82
	;; [unrolled: 3-line block ×3, first 2 shown]
	v_lshrrev_b32_e32 v121, 16, v85
	s_waitcnt vmcnt(16)
	v_mul_f16_sdwa v122, v105, v86 dst_sel:DWORD dst_unused:UNUSED_PAD src0_sel:DWORD src1_sel:WORD_1
	v_mul_f16_sdwa v123, v55, v86 dst_sel:DWORD dst_unused:UNUSED_PAD src0_sel:DWORD src1_sel:WORD_1
	s_waitcnt vmcnt(15)
	v_mul_f16_sdwa v124, v106, v87 dst_sel:DWORD dst_unused:UNUSED_PAD src0_sel:DWORD src1_sel:WORD_1
	v_mul_f16_sdwa v125, v56, v87 dst_sel:DWORD dst_unused:UNUSED_PAD src0_sel:DWORD src1_sel:WORD_1
	;; [unrolled: 3-line block ×17, first 2 shown]
	v_fma_f16 v55, v55, v86, -v122
	v_fmac_f16_e32 v123, v105, v86
	v_fma_f16 v56, v56, v87, -v124
	v_fmac_f16_e32 v125, v106, v87
	;; [unrolled: 2-line block ×17, first 2 shown]
	v_pack_b32_f16 v55, v55, v123
	v_pack_b32_f16 v56, v56, v125
	v_pack_b32_f16 v72, v72, v127
	v_pack_b32_f16 v73, v73, v129
	v_pack_b32_f16 v74, v74, v131
	v_pack_b32_f16 v75, v75, v133
	v_pack_b32_f16 v76, v76, v135
	v_pack_b32_f16 v77, v77, v137
	v_pack_b32_f16 v78, v78, v139
	v_pack_b32_f16 v79, v79, v141
	v_pack_b32_f16 v80, v80, v143
	v_pack_b32_f16 v81, v81, v145
	v_pack_b32_f16 v82, v82, v147
	v_pack_b32_f16 v83, v83, v149
	v_pack_b32_f16 v27, v27, v151
	v_pack_b32_f16 v37, v37, v153
	v_pack_b32_f16 v84, v84, v155
	ds_write2_b32 v52, v55, v56 offset1:65
	ds_write2_b32 v52, v72, v73 offset0:130 offset1:195
	ds_write2_b32 v101, v74, v75 offset0:4 offset1:69
	;; [unrolled: 1-line block ×7, first 2 shown]
	ds_write_b32 v52, v84 offset:4160
.LBB0_13:
	s_or_b32 exec_lo, exec_lo, s2
	s_waitcnt lgkmcnt(0)
	s_barrier
	buffer_gl0_inv
	s_and_saveexec_b32 s1, vcc_lo
	s_cbranch_execz .LBB0_15
; %bb.14:
	v_add_nc_u32_e32 v25, 0x400, v52
	v_add_nc_u32_e32 v26, 0x800, v52
	ds_read2_b32 v[30:31], v52 offset1:65
	ds_read2_b32 v[33:34], v52 offset0:130 offset1:195
	ds_read2_b32 v[35:36], v25 offset0:4 offset1:69
	;; [unrolled: 1-line block ×3, first 2 shown]
	v_add_nc_u32_e32 v25, 0xc00, v52
	ds_read2_b32 v[37:38], v26 offset0:8 offset1:73
	ds_read2_b32 v[41:42], v26 offset0:138 offset1:203
	;; [unrolled: 1-line block ×4, first 2 shown]
	ds_read_b32 v49, v52 offset:4160
	s_waitcnt lgkmcnt(8)
	v_lshrrev_b32_e32 v60, 16, v30
	v_lshrrev_b32_e32 v64, 16, v31
	s_waitcnt lgkmcnt(7)
	v_lshrrev_b32_e32 v63, 16, v33
	v_lshrrev_b32_e32 v59, 16, v34
	;; [unrolled: 3-line block ×8, first 2 shown]
	s_waitcnt lgkmcnt(0)
	v_lshrrev_b32_e32 v51, 16, v49
	v_mov_b32_e32 v32, v37
.LBB0_15:
	s_or_b32 exec_lo, exec_lo, s1
	v_sub_f16_e32 v90, v64, v51
	v_add_f16_e32 v97, v51, v64
	v_add_f16_e32 v72, v49, v31
	v_sub_f16_e32 v74, v31, v49
	v_add_f16_e32 v100, v50, v63
	v_mul_f16_e32 v125, 0xbb29, v90
	v_mul_f16_e32 v153, 0x3722, v97
	v_sub_f16_e32 v91, v63, v50
	v_add_f16_e32 v73, v26, v33
	v_mul_f16_e32 v130, 0xbbf7, v90
	v_fma_f16 v27, v72, 0x3722, -v125
	v_fmamk_f16 v37, v74, 0xbb29, v153
	v_mul_f16_e32 v117, 0x2de8, v97
	v_mul_f16_e32 v131, 0xba62, v91
	v_sub_f16_e32 v76, v33, v26
	v_mul_f16_e32 v164, 0xb8d2, v100
	v_add_f16_e32 v27, v30, v27
	v_add_f16_e32 v37, v60, v37
	v_fma_f16 v55, v72, 0x2de8, -v130
	v_fmamk_f16 v56, v74, 0xbbf7, v117
	v_fma_f16 v75, v73, 0xb8d2, -v131
	v_sub_f16_e32 v93, v59, v67
	v_fmamk_f16 v77, v76, 0xba62, v164
	v_mul_f16_e32 v186, 0xb1e1, v91
	v_mul_f16_e32 v165, 0xbbdd, v100
	v_add_f16_e32 v105, v67, v59
	v_add_f16_e32 v55, v30, v55
	;; [unrolled: 1-line block ×5, first 2 shown]
	v_mul_f16_e32 v143, 0x31e1, v93
	v_add_f16_e32 v37, v77, v37
	v_fma_f16 v78, v73, 0xbbdd, -v186
	v_fmamk_f16 v79, v76, 0xb1e1, v165
	v_sub_f16_e32 v77, v34, v25
	v_mul_f16_e32 v174, 0xbbdd, v105
	v_sub_f16_e32 v94, v61, v57
	v_fma_f16 v80, v75, 0xbbdd, -v143
	v_add_f16_e32 v55, v78, v55
	v_add_f16_e32 v56, v79, v56
	v_fmamk_f16 v79, v77, 0x31e1, v174
	v_mul_f16_e32 v191, 0x3bb2, v93
	v_mul_f16_e32 v183, 0xb461, v105
	v_add_f16_e32 v78, v29, v35
	v_mul_f16_e32 v162, 0x3bb2, v94
	v_add_f16_e32 v101, v57, v61
	v_add_f16_e32 v27, v80, v27
	;; [unrolled: 1-line block ×3, first 2 shown]
	v_fma_f16 v80, v75, 0xb461, -v191
	v_fmamk_f16 v81, v77, 0x3bb2, v183
	v_fma_f16 v82, v78, 0xb461, -v162
	v_sub_f16_e32 v79, v35, v29
	v_mul_f16_e32 v179, 0xb461, v101
	v_sub_f16_e32 v96, v68, v69
	v_mul_f16_e32 v192, 0x35c8, v94
	v_mul_f16_e32 v199, 0x3b76, v101
	v_add_f16_e32 v102, v69, v68
	v_add_f16_e32 v55, v80, v55
	;; [unrolled: 1-line block ×4, first 2 shown]
	v_fmamk_f16 v82, v79, 0x3bb2, v179
	v_add_f16_e32 v80, v28, v36
	v_mul_f16_e32 v170, 0x3964, v96
	v_fma_f16 v83, v78, 0x3b76, -v192
	v_fmamk_f16 v84, v79, 0x35c8, v199
	v_sub_f16_e32 v81, v36, v28
	v_mul_f16_e32 v185, 0x39e9, v102
	v_add_f16_e32 v106, v70, v66
	v_fma_f16 v85, v80, 0x39e9, -v170
	v_add_f16_e32 v37, v82, v37
	v_add_f16_e32 v55, v83, v55
	;; [unrolled: 1-line block ×3, first 2 shown]
	v_fmamk_f16 v84, v81, 0x3964, v185
	v_sub_f16_e32 v99, v66, v70
	v_mul_f16_e32 v195, 0xbb29, v96
	v_mul_f16_e32 v200, 0x3722, v102
	v_sub_f16_e32 v83, v39, v42
	v_mul_f16_e32 v189, 0x3b76, v106
	v_add_f16_e32 v27, v85, v27
	v_add_f16_e32 v82, v42, v39
	v_mul_f16_e32 v184, 0xb5c8, v99
	v_fma_f16 v85, v80, 0x3722, -v195
	v_fmamk_f16 v86, v81, 0xbb29, v200
	v_add_f16_e32 v37, v84, v37
	v_fmamk_f16 v84, v83, 0xb5c8, v189
	v_mul_f16_e32 v194, 0xb836, v99
	v_sub_f16_e32 v103, v65, v71
	v_add_f16_e32 v107, v71, v65
	v_fma_f16 v87, v82, 0x3b76, -v184
	v_add_f16_e32 v55, v85, v55
	v_add_f16_e32 v56, v86, v56
	;; [unrolled: 1-line block ×3, first 2 shown]
	v_mul_f16_e32 v201, 0xbacd, v106
	v_fma_f16 v86, v82, 0xbacd, -v194
	v_add_f16_e32 v84, v41, v40
	v_mul_f16_e32 v187, 0xbbf7, v103
	v_sub_f16_e32 v85, v40, v41
	v_mul_f16_e32 v190, 0x2de8, v107
	v_add_f16_e32 v27, v87, v27
	v_mul_f16_e32 v196, 0x3a62, v103
	v_fmamk_f16 v87, v83, 0xb836, v201
	v_fma_f16 v88, v84, 0x2de8, -v187
	v_add_f16_e32 v55, v86, v55
	v_fmamk_f16 v86, v85, 0xbbf7, v190
	v_mul_f16_e32 v202, 0xb8d2, v107
	v_sub_f16_e32 v108, v58, v62
	v_add_f16_e32 v109, v62, v58
	v_fma_f16 v89, v84, 0xb8d2, -v196
	v_add_f16_e32 v56, v87, v56
	v_add_f16_e32 v27, v88, v27
	;; [unrolled: 1-line block ×3, first 2 shown]
	v_fmamk_f16 v37, v85, 0x3a62, v202
	v_add_f16_e32 v86, v38, v32
	v_sub_f16_e32 v87, v32, v38
	v_mul_f16_e32 v188, 0xb836, v108
	v_mul_f16_e32 v193, 0xbacd, v109
	;; [unrolled: 1-line block ×4, first 2 shown]
	v_add_f16_e32 v89, v89, v55
	v_add_f16_e32 v56, v37, v56
	v_fma_f16 v37, v86, 0xbacd, -v188
	v_fmamk_f16 v55, v87, 0xb836, v193
	v_fma_f16 v92, v86, 0x39e9, -v197
	v_fmamk_f16 v95, v87, 0x3964, v198
	v_add_f16_e32 v37, v37, v27
	v_add_f16_e32 v55, v55, v88
	;; [unrolled: 1-line block ×4, first 2 shown]
	s_barrier
	buffer_gl0_inv
	s_and_saveexec_b32 s1, vcc_lo
	s_cbranch_execz .LBB0_17
; %bb.16:
	v_mul_f16_e32 v113, 0xbbdd, v97
	v_mul_f16_e32 v111, 0x3b76, v100
	;; [unrolled: 1-line block ×5, first 2 shown]
	v_fmamk_f16 v88, v74, 0x31e1, v113
	v_fmamk_f16 v89, v76, 0xb5c8, v111
	v_mul_f16_e32 v126, 0x35c8, v91
	v_fmamk_f16 v92, v77, 0x3836, v110
	v_fmamk_f16 v95, v72, 0xbbdd, v124
	v_add_f16_e32 v88, v60, v88
	v_mul_f16_e32 v114, 0xb8d2, v102
	v_mul_f16_e32 v119, 0xb836, v93
	v_fmamk_f16 v98, v73, 0x3b76, v126
	v_add_f16_e32 v95, v30, v95
	v_add_f16_e32 v88, v89, v88
	v_fmamk_f16 v89, v79, 0xb964, v112
	v_mul_f16_e32 v115, 0x3722, v106
	v_mul_f16_e32 v120, 0x3964, v94
	v_fmamk_f16 v104, v75, 0xbacd, v119
	v_add_f16_e32 v88, v92, v88
	v_fmamk_f16 v92, v81, 0x3a62, v114
	v_add_f16_e32 v95, v98, v95
	v_mul_f16_e32 v116, 0xb461, v107
	v_mul_f16_e32 v127, 0xba62, v96
	v_add_f16_e32 v88, v89, v88
	v_fmamk_f16 v89, v83, 0xbb29, v115
	v_fmamk_f16 v98, v78, 0x39e9, v120
	v_add_f16_e32 v95, v104, v95
	v_mul_f16_e32 v146, 0xbacd, v97
	v_add_f16_e32 v88, v92, v88
	v_fmamk_f16 v92, v85, 0x3bb2, v116
	v_mul_f16_e32 v118, 0x2de8, v109
	v_add_f16_e32 v95, v98, v95
	v_mul_f16_e32 v134, 0x3b29, v99
	v_add_f16_e32 v88, v89, v88
	v_fmamk_f16 v89, v80, 0xb8d2, v127
	v_fmamk_f16 v98, v74, 0x3836, v146
	v_mul_f16_e32 v148, 0x3722, v100
	v_mul_f16_e32 v135, 0xbbb2, v103
	v_add_f16_e32 v88, v92, v88
	v_fmamk_f16 v92, v87, 0xbbf7, v118
	v_add_f16_e32 v89, v89, v95
	v_fmamk_f16 v95, v82, 0x3722, v134
	v_add_f16_e32 v98, v60, v98
	v_fmamk_f16 v104, v76, 0xbb29, v148
	v_mul_f16_e32 v149, 0x2de8, v105
	v_add_f16_e32 v88, v92, v88
	v_add_f16_e32 v89, v95, v89
	v_fmamk_f16 v95, v84, 0xb461, v135
	v_add_f16_e32 v92, v104, v98
	v_fmamk_f16 v98, v77, 0x3bf7, v149
	v_mul_f16_e32 v150, 0xb8d2, v101
	v_mul_f16_e32 v141, 0xb836, v90
	v_add_f16_e32 v89, v95, v89
	v_mul_f16_e32 v157, 0x3b76, v102
	v_add_f16_e32 v92, v98, v92
	v_fmamk_f16 v95, v79, 0xba62, v150
	v_fmamk_f16 v104, v72, 0xbacd, v141
	v_mul_f16_e32 v132, 0x3b29, v91
	v_mul_f16_e32 v136, 0x3bf7, v108
	;; [unrolled: 1-line block ×3, first 2 shown]
	v_add_f16_e32 v92, v95, v92
	v_fmamk_f16 v95, v81, 0x35c8, v157
	v_add_f16_e32 v104, v30, v104
	v_fmamk_f16 v122, v73, 0x3722, v132
	v_mul_f16_e32 v121, 0xbbf7, v93
	v_fmamk_f16 v98, v86, 0x2de8, v136
	v_add_f16_e32 v92, v95, v92
	v_fmamk_f16 v95, v83, 0x31e1, v158
	v_mul_f16_e32 v140, 0x39e9, v107
	v_add_f16_e32 v104, v122, v104
	v_fmamk_f16 v123, v75, 0x2de8, v121
	v_mul_f16_e32 v122, 0x3a62, v94
	v_add_f16_e32 v92, v95, v92
	v_fmamk_f16 v95, v85, 0xb964, v140
	v_add_f16_e32 v89, v98, v89
	v_add_f16_e32 v98, v123, v104
	v_fmamk_f16 v104, v78, 0xb8d2, v122
	v_mul_f16_e32 v123, 0xb5c8, v96
	v_mul_f16_e32 v160, 0xb8d2, v97
	v_add_f16_e32 v92, v95, v92
	v_mul_f16_e32 v147, 0xb461, v109
	v_add_f16_e32 v95, v104, v98
	v_fmamk_f16 v98, v80, 0x3b76, v123
	v_mul_f16_e32 v128, 0xb1e1, v99
	v_fmamk_f16 v133, v74, 0x3a62, v160
	v_mul_f16_e32 v142, 0xb461, v100
	v_fmamk_f16 v104, v87, 0x3bb2, v147
	v_add_f16_e32 v95, v98, v95
	v_fmamk_f16 v98, v82, 0xbbdd, v128
	v_mul_f16_e32 v129, 0x3964, v103
	v_add_f16_e32 v133, v60, v133
	v_fmamk_f16 v137, v76, 0xbbb2, v142
	v_mul_f16_e32 v144, 0x3b76, v105
	v_add_f16_e32 v95, v98, v95
	v_fmamk_f16 v98, v84, 0x39e9, v129
	v_add_f16_e32 v92, v104, v92
	v_add_f16_e32 v104, v137, v133
	v_fmamk_f16 v137, v77, 0x35c8, v144
	v_mul_f16_e32 v145, 0xbacd, v101
	v_mul_f16_e32 v166, 0xba62, v90
	v_add_f16_e32 v95, v98, v95
	v_mul_f16_e32 v155, 0x2de8, v102
	v_add_f16_e32 v98, v137, v104
	v_fmamk_f16 v104, v79, 0x3836, v145
	v_fmamk_f16 v138, v72, 0xb8d2, v166
	v_mul_f16_e32 v167, 0x3bb2, v91
	v_mul_f16_e32 v133, 0xbbb2, v108
	;; [unrolled: 1-line block ×3, first 2 shown]
	v_add_f16_e32 v98, v104, v98
	v_fmamk_f16 v104, v81, 0xbbf7, v155
	v_add_f16_e32 v138, v30, v138
	v_fmamk_f16 v139, v73, 0xb461, v167
	v_mul_f16_e32 v171, 0xb5c8, v93
	v_fmamk_f16 v137, v86, 0xb461, v133
	v_add_f16_e32 v98, v104, v98
	v_fmamk_f16 v104, v83, 0x3964, v156
	v_mul_f16_e32 v159, 0xbbdd, v107
	v_add_f16_e32 v138, v139, v138
	v_fmamk_f16 v139, v75, 0x3b76, v171
	v_mul_f16_e32 v172, 0xb836, v94
	v_add_f16_e32 v98, v104, v98
	v_fmamk_f16 v104, v85, 0x31e1, v159
	v_add_f16_e32 v95, v137, v95
	v_add_f16_e32 v137, v139, v138
	v_fmamk_f16 v138, v78, 0xbacd, v172
	v_mul_f16_e32 v173, 0x3bf7, v96
	v_mul_f16_e32 v151, 0xb461, v97
	v_add_f16_e32 v98, v104, v98
	v_mul_f16_e32 v161, 0x3722, v109
	v_add_f16_e32 v104, v138, v137
	v_fmamk_f16 v138, v80, 0x2de8, v173
	v_mul_f16_e32 v178, 0xb964, v99
	v_fmamk_f16 v152, v74, 0x3bb2, v151
	v_mul_f16_e32 v137, 0xbacd, v100
	v_fmamk_f16 v139, v87, 0xbb29, v161
	v_add_f16_e32 v104, v138, v104
	v_fmamk_f16 v154, v82, 0x39e9, v178
	v_mul_f16_e32 v180, 0xb1e1, v103
	v_add_f16_e32 v152, v60, v152
	v_fmamk_f16 v168, v76, 0xb836, v137
	v_mul_f16_e32 v138, 0x39e9, v105
	v_add_f16_e32 v104, v154, v104
	v_fmamk_f16 v154, v84, 0xbbdd, v180
	v_add_f16_e32 v98, v139, v98
	v_add_f16_e32 v152, v168, v152
	v_fmamk_f16 v168, v77, 0xb964, v138
	v_mul_f16_e32 v139, 0x3722, v101
	v_mul_f16_e32 v176, 0xbbb2, v90
	v_add_f16_e32 v104, v154, v104
	v_mul_f16_e32 v175, 0x3b29, v108
	v_add_f16_e32 v154, v168, v152
	v_fmamk_f16 v168, v79, 0x3b29, v139
	v_mul_f16_e32 v152, 0xbbdd, v102
	v_fmamk_f16 v169, v72, 0xb461, v176
	v_mul_f16_e32 v177, 0x3836, v91
	v_mul_f16_e32 v163, 0xbbf7, v74
	v_fmamk_f16 v182, v86, 0x3722, v175
	v_add_f16_e32 v205, v168, v154
	v_fmamk_f16 v206, v81, 0x31e1, v152
	v_add_f16_e32 v169, v30, v169
	v_fmamk_f16 v207, v73, 0xbacd, v177
	v_mul_f16_e32 v168, 0x3964, v93
	v_mul_f16_e32 v181, 0xb1e1, v76
	v_add_f16_e32 v104, v182, v104
	v_mul_f16_e32 v154, 0x2de8, v106
	v_add_f16_e32 v182, v206, v205
	v_add_f16_e32 v205, v207, v169
	v_fmamk_f16 v206, v75, 0x39e9, v168
	v_mul_f16_e32 v169, 0xbb29, v94
	v_sub_f16_e32 v117, v117, v163
	v_mul_f16_e32 v204, 0x3bb2, v77
	v_fmamk_f16 v207, v83, 0xbbf7, v154
	v_add_f16_e32 v205, v206, v205
	v_fmamk_f16 v206, v78, 0x3722, v169
	v_sub_f16_e32 v165, v165, v181
	v_mul_f16_e32 v181, 0xb1e1, v96
	v_add_f16_e32 v117, v60, v117
	v_mul_f16_e32 v163, 0x3b76, v107
	v_add_f16_e32 v207, v207, v182
	v_add_f16_e32 v205, v206, v205
	v_fmamk_f16 v206, v80, 0xbbdd, v181
	v_add_f16_e32 v117, v165, v117
	v_mul_f16_e32 v182, 0x3bf7, v99
	v_sub_f16_e32 v183, v183, v204
	v_mul_f16_e32 v204, 0x35c8, v79
	v_fmamk_f16 v208, v85, 0x35c8, v163
	v_mul_f16_e32 v165, 0xb8d2, v109
	v_add_f16_e32 v205, v206, v205
	v_fmamk_f16 v206, v82, 0x2de8, v182
	v_add_f16_e32 v117, v183, v117
	v_sub_f16_e32 v199, v199, v204
	v_mul_f16_e32 v204, 0xbb29, v81
	v_add_f16_e32 v207, v208, v207
	v_add_f16_e32 v205, v206, v205
	v_fmamk_f16 v206, v87, 0x3a62, v165
	v_add_f16_e32 v199, v199, v117
	v_sub_f16_e32 v200, v200, v204
	v_mul_f16_e32 v183, 0xb5c8, v103
	v_add_f16_e32 v31, v31, v30
	v_add_f16_e32 v117, v206, v207
	v_mul_f16_e32 v206, 0x2de8, v72
	v_mul_f16_e32 v207, 0xb836, v83
	v_add_f16_e32 v199, v200, v199
	v_mul_f16_e32 v200, 0xbbdd, v73
	v_fmamk_f16 v208, v84, 0x3b76, v183
	v_mul_f16_e32 v204, 0xbb29, v74
	v_add_f16_e32 v130, v206, v130
	v_sub_f16_e32 v201, v201, v207
	v_mul_f16_e32 v207, 0x3a62, v85
	v_add_f16_e32 v200, v200, v186
	v_mul_f16_e32 v186, 0xba62, v108
	v_add_f16_e32 v31, v33, v31
	v_add_f16_e32 v33, v64, v60
	;; [unrolled: 1-line block ×5, first 2 shown]
	v_mul_f16_e32 v201, 0xb461, v75
	v_sub_f16_e32 v202, v202, v207
	v_fmamk_f16 v207, v86, 0xb8d2, v186
	v_mul_f16_e32 v208, 0xba62, v76
	v_sub_f16_e32 v153, v153, v204
	v_add_f16_e32 v31, v34, v31
	v_add_f16_e32 v33, v63, v33
	;; [unrolled: 1-line block ×5, first 2 shown]
	v_mul_f16_e32 v205, 0x31e1, v77
	v_add_f16_e32 v199, v202, v199
	v_mul_f16_e32 v202, 0x3b76, v78
	v_sub_f16_e32 v164, v164, v208
	v_add_f16_e32 v153, v60, v153
	v_add_f16_e32 v31, v35, v31
	;; [unrolled: 1-line block ×3, first 2 shown]
	v_mul_f16_e32 v203, 0x3722, v72
	v_add_f16_e32 v191, v191, v200
	v_mul_f16_e32 v204, 0x3bb2, v79
	v_add_f16_e32 v192, v202, v192
	;; [unrolled: 2-line block ×3, first 2 shown]
	v_sub_f16_e32 v174, v174, v205
	v_add_f16_e32 v31, v36, v31
	v_add_f16_e32 v33, v61, v33
	v_mul_f16_e32 v206, 0xb8d2, v73
	v_add_f16_e32 v191, v192, v191
	v_mul_f16_e32 v192, 0x3964, v81
	;; [unrolled: 2-line block ×3, first 2 shown]
	v_add_f16_e32 v125, v203, v125
	v_add_f16_e32 v153, v174, v153
	v_sub_f16_e32 v179, v179, v204
	v_mul_f16_e32 v35, 0xb5c8, v90
	v_add_f16_e32 v31, v39, v31
	v_add_f16_e32 v33, v68, v33
	v_mul_f16_e32 v201, 0xbbdd, v75
	v_mul_f16_e32 v164, 0xb5c8, v83
	v_add_f16_e32 v191, v195, v191
	v_add_f16_e32 v194, v205, v194
	v_mul_f16_e32 v174, 0xb8d2, v84
	v_add_f16_e32 v131, v206, v131
	v_add_f16_e32 v125, v30, v125
	v_add_f16_e32 v153, v179, v153
	v_sub_f16_e32 v179, v185, v192
	v_fmamk_f16 v36, v72, 0x3b76, v35
	v_mul_f16_e32 v61, 0xb964, v91
	v_add_f16_e32 v31, v40, v31
	v_add_f16_e32 v33, v66, v33
	v_mul_f16_e32 v200, 0xb461, v78
	v_mul_f16_e32 v206, 0x39e9, v86
	v_add_f16_e32 v191, v194, v191
	v_add_f16_e32 v174, v174, v196
	;; [unrolled: 1-line block ×5, first 2 shown]
	v_sub_f16_e32 v164, v189, v164
	v_add_f16_e32 v36, v30, v36
	v_fmamk_f16 v39, v73, 0x39e9, v61
	v_mul_f16_e32 v68, 0xbb29, v93
	v_add_f16_e32 v31, v32, v31
	v_add_f16_e32 v32, v65, v33
	v_mul_f16_e32 v207, 0x39e9, v80
	v_mul_f16_e32 v203, 0xbbf7, v85
	v_add_f16_e32 v174, v174, v191
	v_add_f16_e32 v131, v143, v131
	;; [unrolled: 1-line block ×5, first 2 shown]
	v_mul_f16_e32 v164, 0x39e9, v97
	v_add_f16_e32 v36, v39, v36
	v_fmamk_f16 v39, v75, 0x3722, v68
	v_mul_f16_e32 v33, 0xbbf7, v94
	v_add_f16_e32 v31, v38, v31
	v_add_f16_e32 v32, v58, v32
	v_mul_f16_e32 v202, 0x3b76, v82
	v_mul_f16_e32 v205, 0x3964, v87
	v_sub_f16_e32 v179, v190, v203
	v_add_f16_e32 v143, v143, v131
	v_add_f16_e32 v170, v207, v170
	;; [unrolled: 1-line block ×3, first 2 shown]
	v_fmamk_f16 v162, v74, 0x3964, v164
	v_mul_f16_e32 v174, 0x2de8, v100
	v_add_f16_e32 v36, v39, v36
	v_fmamk_f16 v38, v78, 0x2de8, v33
	v_mul_f16_e32 v39, 0xbbb2, v96
	v_add_f16_e32 v31, v41, v31
	v_add_f16_e32 v32, v62, v32
	v_sub_f16_e32 v198, v198, v205
	v_mul_f16_e32 v205, 0xb836, v87
	v_add_f16_e32 v153, v179, v153
	v_add_f16_e32 v143, v170, v143
	;; [unrolled: 1-line block ×4, first 2 shown]
	v_fmamk_f16 v179, v76, 0x3bf7, v174
	v_mul_f16_e32 v184, 0xb8d2, v105
	v_add_f16_e32 v36, v38, v36
	v_fmamk_f16 v38, v80, 0xb461, v39
	v_mul_f16_e32 v41, 0xba62, v99
	v_add_f16_e32 v31, v42, v31
	v_add_f16_e32 v32, v71, v32
	v_sub_f16_e32 v185, v193, v205
	v_add_f16_e32 v162, v179, v162
	v_fmamk_f16 v179, v77, 0x3a62, v184
	v_mul_f16_e32 v189, 0xbbdd, v101
	v_add_f16_e32 v36, v38, v36
	v_fmamk_f16 v38, v82, 0xb8d2, v41
	v_add_f16_e32 v28, v28, v31
	v_add_f16_e32 v31, v70, v32
	v_mul_f16_e32 v32, 0xb836, v103
	v_add_f16_e32 v170, v170, v143
	v_add_f16_e32 v143, v185, v153
	v_add_f16_e32 v162, v179, v162
	v_fmamk_f16 v179, v79, 0x31e1, v189
	v_mul_f16_e32 v185, 0xbacd, v102
	v_add_f16_e32 v36, v38, v36
	v_add_f16_e32 v28, v29, v28
	;; [unrolled: 1-line block ×3, first 2 shown]
	v_fmamk_f16 v31, v84, 0xbacd, v32
	v_mul_f16_e32 v38, 0xb1e1, v108
	v_add_f16_e32 v162, v179, v162
	v_fmamk_f16 v179, v81, 0xb836, v185
	v_mul_f16_e32 v191, 0xb461, v106
	v_add_f16_e32 v25, v25, v28
	v_add_f16_e32 v28, v57, v29
	v_add_f16_e32 v29, v31, v36
	v_fmamk_f16 v31, v86, 0xbbdd, v38
	v_add_f16_e32 v162, v179, v162
	v_fmamk_f16 v179, v83, 0xbbb2, v191
	v_mul_f16_e32 v194, 0x3722, v107
	v_add_f16_e32 v25, v26, v25
	v_add_f16_e32 v26, v67, v28
	;; [unrolled: 1-line block ×3, first 2 shown]
	v_fma_f16 v29, v72, 0xbbdd, -v124
	v_add_f16_e32 v162, v179, v162
	v_fmamk_f16 v179, v85, 0xbb29, v194
	v_mul_f16_e32 v97, 0x3b76, v97
	v_fma_f16 v36, v73, 0x3b76, -v126
	v_add_f16_e32 v29, v30, v29
	v_fmac_f16_e32 v146, 0xb836, v74
	v_add_f16_e32 v125, v198, v199
	v_add_f16_e32 v179, v179, v162
	v_mul_f16_e32 v162, 0x3b76, v109
	v_fmamk_f16 v198, v74, 0x35c8, v97
	v_mul_f16_e32 v100, 0x39e9, v100
	v_add_f16_e32 v25, v49, v25
	v_add_f16_e32 v29, v36, v29
	v_fma_f16 v36, v75, 0xbacd, -v119
	v_add_f16_e32 v49, v60, v146
	v_fmac_f16_e32 v148, 0x3b29, v76
	v_fmamk_f16 v197, v87, 0xb5c8, v162
	v_add_f16_e32 v198, v60, v198
	v_fmamk_f16 v200, v76, 0x3964, v100
	v_mul_f16_e32 v105, 0x3722, v105
	v_add_f16_e32 v29, v36, v29
	v_fma_f16 v36, v78, 0x39e9, -v120
	v_add_f16_e32 v49, v148, v49
	v_fmac_f16_e32 v149, 0xbbf7, v77
	v_add_f16_e32 v179, v197, v179
	v_add_f16_e32 v197, v200, v198
	v_fmamk_f16 v198, v77, 0x3b29, v105
	v_mul_f16_e32 v101, 0x2de8, v101
	v_add_f16_e32 v29, v36, v29
	v_fma_f16 v36, v80, 0xb8d2, -v127
	v_add_f16_e32 v49, v149, v49
	v_fmac_f16_e32 v150, 0x3a62, v79
	v_add_f16_e32 v197, v198, v197
	v_fmamk_f16 v64, v79, 0x3bf7, v101
	v_mul_f16_e32 v102, 0xb461, v102
	v_add_f16_e32 v29, v36, v29
	v_fma_f16 v36, v82, 0x3722, -v134
	v_add_f16_e32 v49, v150, v49
	v_fmac_f16_e32 v157, 0xb5c8, v81
	;; [unrolled: 7-line block ×3, first 2 shown]
	v_add_f16_e32 v34, v63, v34
	v_fmamk_f16 v63, v83, 0x3a62, v59
	v_mul_f16_e32 v40, 0xbacd, v107
	v_add_f16_e32 v26, v50, v26
	v_add_f16_e32 v29, v36, v29
	v_fma_f16 v36, v86, 0x2de8, -v136
	v_add_f16_e32 v49, v158, v49
	v_fmac_f16_e32 v140, 0x3964, v85
	v_fma_f16 v50, v72, 0xbacd, -v141
	v_fmac_f16_e32 v160, 0xba62, v74
	v_add_f16_e32 v34, v63, v34
	v_fmamk_f16 v58, v85, 0x3836, v40
	v_mul_f16_e32 v42, 0xbbdd, v109
	v_add_f16_e32 v26, v51, v26
	v_add_f16_e32 v29, v36, v29
	;; [unrolled: 1-line block ×4, first 2 shown]
	v_fma_f16 v50, v73, 0x3722, -v132
	v_add_f16_e32 v51, v60, v160
	v_fmac_f16_e32 v142, 0x3bb2, v76
	v_add_f16_e32 v34, v58, v34
	v_fmamk_f16 v58, v87, 0x31e1, v42
	v_fma_f16 v57, v72, 0xb8d2, -v166
	v_add_f16_e32 v49, v50, v49
	v_fma_f16 v50, v75, 0x2de8, -v121
	v_add_f16_e32 v51, v142, v51
	v_fmac_f16_e32 v144, 0xb5c8, v77
	v_add_f16_e32 v34, v58, v34
	v_add_f16_e32 v57, v30, v57
	v_fma_f16 v58, v73, 0xb461, -v167
	v_add_f16_e32 v49, v50, v49
	v_fma_f16 v50, v78, 0xb8d2, -v122
	v_add_f16_e32 v51, v144, v51
	v_fmac_f16_e32 v145, 0xb836, v79
	v_add_f16_e32 v57, v58, v57
	v_fma_f16 v58, v75, 0x3b76, -v171
	v_add_f16_e32 v49, v50, v49
	v_fma_f16 v50, v80, 0x3b76, -v123
	v_add_f16_e32 v51, v145, v51
	v_fmac_f16_e32 v155, 0x3bf7, v81
	;; [unrolled: 6-line block ×5, first 2 shown]
	v_add_f16_e32 v57, v58, v57
	v_fma_f16 v58, v84, 0xbbdd, -v180
	v_add_f16_e32 v49, v50, v49
	v_fmac_f16_e32 v151, 0xbbb2, v74
	v_add_f16_e32 v50, v161, v51
	v_fma_f16 v51, v72, 0xb461, -v176
	v_add_f16_e32 v57, v58, v57
	v_fma_f16 v58, v86, 0x3722, -v175
	v_add_f16_e32 v62, v60, v151
	v_fmac_f16_e32 v137, 0x3836, v76
	v_add_f16_e32 v51, v30, v51
	v_fma_f16 v63, v73, 0xbacd, -v177
	v_fmac_f16_e32 v164, 0xb964, v74
	v_mul_f16_e32 v195, 0x2de8, v84
	v_add_f16_e32 v57, v58, v57
	v_add_f16_e32 v58, v137, v62
	;; [unrolled: 1-line block ×3, first 2 shown]
	v_fma_f16 v62, v75, 0x39e9, -v168
	v_add_f16_e32 v63, v60, v164
	v_fmac_f16_e32 v174, 0xbbf7, v76
	v_add_f16_e32 v187, v195, v187
	v_fmac_f16_e32 v184, 0xba62, v77
	v_add_f16_e32 v51, v62, v51
	v_fma_f16 v62, v78, 0x3722, -v169
	v_add_f16_e32 v63, v174, v63
	v_mul_f16_e32 v204, 0xbacd, v86
	v_add_f16_e32 v153, v187, v170
	v_mul_f16_e32 v170, 0xb964, v90
	v_add_f16_e32 v51, v62, v51
	v_fma_f16 v62, v80, 0xbbdd, -v181
	v_add_f16_e32 v63, v184, v63
	v_fmac_f16_e32 v189, 0xb1e1, v79
	v_add_f16_e32 v187, v204, v188
	v_fmamk_f16 v188, v72, 0x39e9, v170
	v_mul_f16_e32 v190, 0xbbf7, v91
	v_add_f16_e32 v51, v62, v51
	v_fma_f16 v62, v82, 0x2de8, -v182
	v_add_f16_e32 v63, v189, v63
	v_fmac_f16_e32 v185, 0x3836, v81
	v_add_f16_e32 v188, v30, v188
	v_fmamk_f16 v192, v73, 0x2de8, v190
	v_mul_f16_e32 v193, 0xba62, v93
	v_add_f16_e32 v51, v62, v51
	v_fma_f16 v62, v84, 0x3b76, -v183
	v_add_f16_e32 v63, v185, v63
	v_fmac_f16_e32 v191, 0x3bb2, v83
	v_fmac_f16_e32 v113, 0xb1e1, v74
	v_add_f16_e32 v188, v192, v188
	v_fmamk_f16 v192, v75, 0xb8d2, v193
	v_mul_f16_e32 v195, 0xb1e1, v94
	v_add_f16_e32 v51, v62, v51
	v_fma_f16 v62, v86, 0xb8d2, -v186
	v_add_f16_e32 v63, v191, v63
	v_fmac_f16_e32 v194, 0x3b29, v85
	v_fma_f16 v65, v72, 0x39e9, -v170
	v_fmac_f16_e32 v97, 0xb5c8, v74
	v_fma_f16 v35, v72, 0x3b76, -v35
	v_add_f16_e32 v31, v60, v113
	v_fmac_f16_e32 v111, 0x35c8, v76
	v_add_f16_e32 v153, v187, v153
	v_add_f16_e32 v187, v192, v188
	v_fmamk_f16 v188, v78, 0xbbdd, v195
	v_mul_f16_e32 v192, 0x3836, v96
	v_add_f16_e32 v51, v62, v51
	v_add_f16_e32 v62, v194, v63
	;; [unrolled: 1-line block ×3, first 2 shown]
	v_fma_f16 v65, v73, 0x2de8, -v190
	v_add_f16_e32 v60, v60, v97
	v_fmac_f16_e32 v100, 0xb964, v76
	v_add_f16_e32 v30, v30, v35
	v_fma_f16 v35, v73, 0x39e9, -v61
	v_add_f16_e32 v31, v111, v31
	v_fmac_f16_e32 v110, 0xb836, v77
	v_add_f16_e32 v187, v188, v187
	v_fmamk_f16 v188, v80, 0xbacd, v192
	v_mul_f16_e32 v196, 0x3bb2, v99
	v_fmac_f16_e32 v138, 0x3964, v77
	v_add_f16_e32 v63, v65, v63
	v_fma_f16 v65, v75, 0xb8d2, -v193
	v_add_f16_e32 v60, v100, v60
	v_fmac_f16_e32 v105, 0xbb29, v77
	v_add_f16_e32 v30, v35, v30
	v_fma_f16 v35, v75, 0x3722, -v68
	v_add_f16_e32 v31, v110, v31
	v_fmac_f16_e32 v112, 0x3964, v79
	v_add_f16_e32 v187, v188, v187
	v_fmamk_f16 v188, v82, 0xb461, v196
	v_mul_f16_e32 v199, 0x3b29, v103
	v_add_f16_e32 v58, v138, v58
	v_fmac_f16_e32 v139, 0xbb29, v79
	v_add_f16_e32 v61, v65, v63
	v_fma_f16 v63, v78, 0xbbdd, -v195
	v_add_f16_e32 v60, v105, v60
	v_fmac_f16_e32 v101, 0xbbf7, v79
	v_add_f16_e32 v30, v35, v30
	v_fma_f16 v33, v78, 0x2de8, -v33
	v_add_f16_e32 v31, v112, v31
	v_fmac_f16_e32 v114, 0xba62, v81
	v_add_f16_e32 v187, v188, v187
	v_fmamk_f16 v188, v84, 0x3722, v199
	v_add_f16_e32 v58, v139, v58
	v_fmac_f16_e32 v152, 0xb1e1, v81
	v_add_f16_e32 v61, v63, v61
	v_fma_f16 v63, v80, 0xbacd, -v192
	v_add_f16_e32 v60, v101, v60
	v_fmac_f16_e32 v102, 0xbbb2, v81
	v_add_f16_e32 v30, v33, v30
	v_fma_f16 v33, v80, 0xb461, -v39
	v_add_f16_e32 v31, v114, v31
	v_fmac_f16_e32 v115, 0x3b29, v83
	v_add_f16_e32 v187, v188, v187
	v_mul_f16_e32 v188, 0x35c8, v108
	v_add_f16_e32 v58, v152, v58
	v_fmac_f16_e32 v154, 0x3bf7, v83
	v_add_f16_e32 v35, v63, v61
	v_fma_f16 v61, v82, 0xb461, -v196
	v_add_f16_e32 v60, v102, v60
	v_fmac_f16_e32 v59, 0xba62, v83
	v_add_f16_e32 v30, v33, v30
	v_fma_f16 v33, v82, 0xb8d2, -v41
	v_add_f16_e32 v31, v115, v31
	v_fmac_f16_e32 v116, 0xbbb2, v85
	v_fmamk_f16 v198, v86, 0x3b76, v188
	v_add_f16_e32 v58, v154, v58
	v_fmac_f16_e32 v163, 0xb5c8, v85
	v_add_f16_e32 v35, v61, v35
	v_fma_f16 v39, v84, 0x3722, -v199
	v_add_f16_e32 v59, v59, v60
	v_fmac_f16_e32 v40, 0xb836, v85
	v_add_f16_e32 v30, v33, v30
	v_fma_f16 v32, v84, 0xbacd, -v32
	v_add_f16_e32 v31, v116, v31
	v_fmac_f16_e32 v118, 0x3bf7, v87
	v_and_b32_e32 v41, 0xffff, v47
	v_add_f16_e32 v64, v198, v187
	v_fmac_f16_e32 v147, 0xbbb2, v87
	v_add_f16_e32 v58, v163, v58
	v_fmac_f16_e32 v165, 0xba62, v87
	v_add_f16_e32 v35, v39, v35
	v_fma_f16 v39, v86, 0x3b76, -v188
	v_add_f16_e32 v40, v40, v59
	v_fmac_f16_e32 v42, 0xb1e1, v87
	v_fmac_f16_e32 v162, 0x35c8, v87
	v_add_f16_e32 v30, v32, v30
	v_fma_f16 v32, v86, 0xbbdd, -v38
	v_add_f16_e32 v31, v118, v31
	v_lshl_add_u32 v38, v41, 2, v46
	v_pack_b32_f16 v28, v28, v34
	v_pack_b32_f16 v25, v25, v26
	v_add_f16_e32 v36, v147, v36
	v_pack_b32_f16 v26, v153, v143
	v_pack_b32_f16 v34, v64, v179
	v_add_f16_e32 v58, v165, v58
	v_add_f16_e32 v35, v39, v35
	v_add_f16_e32 v39, v42, v40
	v_pack_b32_f16 v40, v131, v125
	v_pack_b32_f16 v41, v130, v117
	v_add_f16_e32 v33, v162, v62
	v_pack_b32_f16 v42, v95, v92
	v_pack_b32_f16 v46, v104, v98
	v_add_f16_e32 v30, v32, v30
	ds_write2_b32 v38, v25, v28 offset1:1
	ds_write2_b32 v38, v34, v26 offset0:2 offset1:3
	ds_write2_b32 v38, v40, v41 offset0:4 offset1:5
	;; [unrolled: 1-line block ×3, first 2 shown]
	v_pack_b32_f16 v25, v29, v31
	v_pack_b32_f16 v26, v89, v88
	;; [unrolled: 1-line block ×5, first 2 shown]
	v_perm_b32 v32, v56, v27, 0x5040100
	v_pack_b32_f16 v33, v35, v33
	v_perm_b32 v34, v55, v37, 0x5040100
	v_pack_b32_f16 v30, v30, v39
	ds_write2_b32 v38, v26, v25 offset0:8 offset1:9
	ds_write2_b32 v38, v29, v28 offset0:10 offset1:11
	ds_write2_b32 v38, v31, v32 offset0:12 offset1:13
	ds_write2_b32 v38, v34, v33 offset0:14 offset1:15
	ds_write_b32 v38, v30 offset:64
.LBB0_17:
	s_or_b32 exec_lo, exec_lo, s1
	s_waitcnt lgkmcnt(0)
	s_barrier
	buffer_gl0_inv
	ds_read2_b32 v[30:31], v48 offset1:85
	ds_read2_b32 v[32:33], v48 offset0:170 offset1:255
	v_add_nc_u32_e32 v26, 0x400, v48
	v_add_nc_u32_e32 v25, 0x600, v48
	ds_read_b32 v36, v48 offset:4080
	ds_read2_b32 v[34:35], v26 offset0:84 offset1:169
	ds_read2_b32 v[38:39], v25 offset0:126 offset1:211
	v_add_nc_u32_e32 v28, 0x800, v48
	v_add_nc_u32_e32 v29, 0xc00, v48
	ds_read2_b32 v[40:41], v28 offset0:168 offset1:253
	ds_read2_b32 v[46:47], v29 offset0:82 offset1:167
	s_waitcnt lgkmcnt(0)
	s_barrier
	buffer_gl0_inv
	v_lshrrev_b32_e32 v26, 16, v31
	v_lshrrev_b32_e32 v42, 16, v32
	;; [unrolled: 1-line block ×3, first 2 shown]
	v_mul_f16_sdwa v51, v12, v31 dst_sel:DWORD dst_unused:UNUSED_PAD src0_sel:WORD_1 src1_sel:DWORD
	v_mul_f16_sdwa v57, v13, v32 dst_sel:DWORD dst_unused:UNUSED_PAD src0_sel:WORD_1 src1_sel:DWORD
	;; [unrolled: 1-line block ×3, first 2 shown]
	v_lshrrev_b32_e32 v58, 16, v34
	v_lshrrev_b32_e32 v59, 16, v35
	v_mul_f16_sdwa v66, v13, v42 dst_sel:DWORD dst_unused:UNUSED_PAD src0_sel:WORD_1 src1_sel:DWORD
	v_lshrrev_b32_e32 v60, 16, v38
	v_fmac_f16_e32 v63, v12, v31
	v_mul_f16_sdwa v31, v14, v49 dst_sel:DWORD dst_unused:UNUSED_PAD src0_sel:WORD_1 src1_sel:DWORD
	v_fma_f16 v26, v12, v26, -v51
	v_fmac_f16_e32 v66, v13, v32
	v_fma_f16 v32, v13, v42, -v57
	v_mul_f16_sdwa v12, v14, v33 dst_sel:DWORD dst_unused:UNUSED_PAD src0_sel:WORD_1 src1_sel:DWORD
	v_fmac_f16_e32 v31, v14, v33
	v_mul_f16_sdwa v33, v15, v58 dst_sel:DWORD dst_unused:UNUSED_PAD src0_sel:WORD_1 src1_sel:DWORD
	v_mul_f16_sdwa v42, v15, v34 dst_sel:DWORD dst_unused:UNUSED_PAD src0_sel:WORD_1 src1_sel:DWORD
	;; [unrolled: 1-line block ×3, first 2 shown]
	v_fma_f16 v49, v14, v49, -v12
	v_mul_f16_sdwa v14, v8, v35 dst_sel:DWORD dst_unused:UNUSED_PAD src0_sel:WORD_1 src1_sel:DWORD
	v_fmac_f16_e32 v33, v15, v34
	v_fma_f16 v15, v15, v58, -v42
	v_fmac_f16_e32 v13, v8, v35
	v_mul_f16_sdwa v12, v9, v60 dst_sel:DWORD dst_unused:UNUSED_PAD src0_sel:WORD_1 src1_sel:DWORD
	v_mul_f16_sdwa v34, v9, v38 dst_sel:DWORD dst_unused:UNUSED_PAD src0_sel:WORD_1 src1_sel:DWORD
	v_add_f16_e32 v35, v30, v63
	v_add_f16_sdwa v42, v30, v26 dst_sel:DWORD dst_unused:UNUSED_PAD src0_sel:WORD_1 src1_sel:DWORD
	v_lshrrev_b32_e32 v61, 16, v39
	v_fmac_f16_e32 v12, v9, v38
	v_fma_f16 v9, v9, v60, -v34
	v_add_f16_e32 v34, v35, v66
	v_add_f16_e32 v35, v42, v32
	v_lshrrev_b32_e32 v62, 16, v40
	v_fma_f16 v14, v8, v59, -v14
	v_mul_f16_sdwa v8, v10, v61 dst_sel:DWORD dst_unused:UNUSED_PAD src0_sel:WORD_1 src1_sel:DWORD
	v_mul_f16_sdwa v38, v10, v39 dst_sel:DWORD dst_unused:UNUSED_PAD src0_sel:WORD_1 src1_sel:DWORD
	v_add_f16_e32 v34, v34, v31
	v_add_f16_e32 v35, v35, v49
	v_lshrrev_b32_e32 v64, 16, v41
	v_fmac_f16_e32 v8, v10, v39
	v_mul_f16_sdwa v39, v11, v62 dst_sel:DWORD dst_unused:UNUSED_PAD src0_sel:WORD_1 src1_sel:DWORD
	v_fma_f16 v10, v10, v61, -v38
	v_mul_f16_sdwa v38, v11, v40 dst_sel:DWORD dst_unused:UNUSED_PAD src0_sel:WORD_1 src1_sel:DWORD
	v_add_f16_e32 v34, v34, v33
	v_add_f16_e32 v35, v35, v15
	v_lshrrev_b32_e32 v65, 16, v46
	v_fmac_f16_e32 v39, v11, v40
	v_mul_f16_sdwa v40, v4, v64 dst_sel:DWORD dst_unused:UNUSED_PAD src0_sel:WORD_1 src1_sel:DWORD
	v_fma_f16 v11, v11, v62, -v38
	v_mul_f16_sdwa v38, v4, v41 dst_sel:DWORD dst_unused:UNUSED_PAD src0_sel:WORD_1 src1_sel:DWORD
	v_add_f16_e32 v34, v34, v13
	v_add_f16_e32 v35, v35, v14
	v_fmac_f16_e32 v40, v4, v41
	v_mul_f16_sdwa v41, v5, v65 dst_sel:DWORD dst_unused:UNUSED_PAD src0_sel:WORD_1 src1_sel:DWORD
	v_fma_f16 v4, v4, v64, -v38
	v_add_f16_e32 v34, v34, v12
	v_add_f16_e32 v35, v35, v9
	v_mul_f16_sdwa v38, v5, v46 dst_sel:DWORD dst_unused:UNUSED_PAD src0_sel:WORD_1 src1_sel:DWORD
	v_lshrrev_b32_e32 v50, 16, v36
	v_lshrrev_b32_e32 v67, 16, v47
	v_fmac_f16_e32 v41, v5, v46
	v_add_f16_e32 v34, v34, v8
	v_add_f16_e32 v35, v35, v10
	v_fma_f16 v5, v5, v65, -v38
	v_mul_f16_sdwa v38, v7, v36 dst_sel:DWORD dst_unused:UNUSED_PAD src0_sel:WORD_1 src1_sel:DWORD
	v_mul_f16_sdwa v42, v6, v67 dst_sel:DWORD dst_unused:UNUSED_PAD src0_sel:WORD_1 src1_sel:DWORD
	v_add_f16_e32 v34, v34, v39
	v_add_f16_e32 v35, v35, v11
	v_mul_f16_sdwa v46, v7, v50 dst_sel:DWORD dst_unused:UNUSED_PAD src0_sel:WORD_1 src1_sel:DWORD
	v_fma_f16 v38, v7, v50, -v38
	v_fmac_f16_e32 v42, v6, v47
	v_mul_f16_sdwa v47, v6, v47 dst_sel:DWORD dst_unused:UNUSED_PAD src0_sel:WORD_1 src1_sel:DWORD
	v_add_f16_e32 v34, v34, v40
	v_add_f16_e32 v35, v35, v4
	v_fmac_f16_e32 v46, v7, v36
	v_sub_f16_e32 v36, v26, v38
	v_fma_f16 v47, v6, v67, -v47
	v_add_f16_e32 v6, v34, v41
	v_add_f16_e32 v7, v35, v5
	;; [unrolled: 1-line block ×3, first 2 shown]
	v_mul_f16_e32 v35, 0xb770, v36
	v_add_f16_e32 v26, v26, v38
	v_sub_f16_e32 v75, v32, v47
	v_add_f16_e32 v7, v7, v47
	v_add_f16_e32 v6, v6, v42
	v_fmamk_f16 v51, v34, 0x3b15, v35
	v_sub_f16_e32 v50, v63, v46
	v_mul_f16_e32 v57, 0x3b15, v26
	v_add_f16_e32 v7, v7, v38
	v_mul_f16_e32 v58, 0x388b, v26
	v_add_f16_e32 v38, v30, v51
	v_mul_f16_e32 v51, 0xba95, v36
	v_mul_f16_e32 v61, 0xbbf1, v36
	;; [unrolled: 1-line block ×9, first 2 shown]
	v_add_f16_e32 v77, v66, v42
	v_mul_f16_e32 v78, 0xba95, v75
	v_add_f16_e32 v32, v32, v47
	v_add_f16_e32 v6, v6, v46
	v_fmamk_f16 v46, v50, 0x3770, v57
	v_fma_f16 v35, v34, 0x3b15, -v35
	v_fmac_f16_e32 v57, 0xb770, v50
	v_fmamk_f16 v59, v34, 0x388b, v51
	v_fmamk_f16 v60, v50, 0x3a95, v58
	v_fma_f16 v51, v34, 0x388b, -v51
	v_fmac_f16_e32 v58, 0xba95, v50
	v_fmamk_f16 v62, v34, 0x2fb7, v61
	v_fmamk_f16 v65, v50, 0x3bf1, v63
	v_fma_f16 v61, v34, 0x2fb7, -v61
	v_fmac_f16_e32 v63, 0xbbf1, v50
	v_fmamk_f16 v67, v34, 0xb5ac, v64
	v_fmamk_f16 v69, v50, 0x3b7b, v68
	v_fma_f16 v64, v34, 0xb5ac, -v64
	v_fmac_f16_e32 v68, 0xbb7b, v50
	v_fmamk_f16 v72, v34, 0xb9fd, v70
	v_fmamk_f16 v73, v50, 0x394e, v71
	v_fma_f16 v70, v34, 0xb9fd, -v70
	v_fmac_f16_e32 v71, 0xb94e, v50
	v_fmamk_f16 v74, v34, 0xbbc4, v36
	v_fmamk_f16 v76, v50, 0x33a8, v26
	v_fma_f16 v34, v34, 0xbbc4, -v36
	v_fmac_f16_e32 v26, 0xb3a8, v50
	v_sub_f16_e32 v36, v66, v42
	v_fmamk_f16 v42, v77, 0x388b, v78
	v_mul_f16_e32 v47, 0x388b, v32
	v_add_f16_sdwa v46, v30, v46 dst_sel:DWORD dst_unused:UNUSED_PAD src0_sel:WORD_1 src1_sel:DWORD
	v_add_f16_e32 v35, v30, v35
	v_add_f16_sdwa v57, v30, v57 dst_sel:DWORD dst_unused:UNUSED_PAD src0_sel:WORD_1 src1_sel:DWORD
	v_add_f16_e32 v59, v30, v59
	;; [unrolled: 2-line block ×12, first 2 shown]
	v_fmamk_f16 v38, v36, 0x3a95, v47
	v_mul_f16_e32 v42, 0xbb7b, v75
	v_fma_f16 v66, v77, 0x388b, -v78
	v_fmac_f16_e32 v47, 0xba95, v36
	v_mul_f16_e32 v76, 0xb5ac, v32
	v_add_f16_e32 v38, v38, v46
	v_fmamk_f16 v46, v77, 0xb5ac, v42
	v_add_f16_e32 v35, v66, v35
	v_add_f16_e32 v47, v47, v57
	v_fmamk_f16 v57, v36, 0x3b7b, v76
	v_mul_f16_e32 v66, 0xb3a8, v75
	v_add_f16_e32 v46, v46, v59
	v_fma_f16 v42, v77, 0xb5ac, -v42
	v_fmac_f16_e32 v76, 0xbb7b, v36
	v_add_f16_e32 v57, v57, v60
	v_fmamk_f16 v59, v77, 0xbbc4, v66
	v_mul_f16_e32 v60, 0xbbc4, v32
	v_add_f16_e32 v42, v42, v51
	v_add_f16_e32 v51, v76, v58
	v_mul_f16_e32 v58, 0x394e, v75
	v_add_f16_e32 v59, v59, v62
	v_fmamk_f16 v62, v36, 0x33a8, v60
	v_fma_f16 v66, v77, 0xbbc4, -v66
	v_mul_f16_e32 v78, 0xb9fd, v32
	v_fmac_f16_e32 v60, 0xb3a8, v36
	v_fmamk_f16 v76, v77, 0xb9fd, v58
	v_add_f16_e32 v62, v62, v65
	v_add_f16_e32 v61, v66, v61
	v_fmamk_f16 v65, v36, 0xb94e, v78
	v_mul_f16_e32 v66, 0x3bf1, v75
	v_add_f16_e32 v60, v60, v63
	v_add_f16_e32 v63, v76, v67
	v_fma_f16 v58, v77, 0xb9fd, -v58
	v_mul_f16_e32 v67, 0x2fb7, v32
	v_add_f16_e32 v65, v65, v69
	v_fmamk_f16 v69, v77, 0x2fb7, v66
	v_mul_f16_e32 v75, 0x3770, v75
	v_fma_f16 v66, v77, 0x2fb7, -v66
	v_add_f16_e32 v58, v58, v64
	v_fmamk_f16 v64, v36, 0xbbf1, v67
	v_add_f16_e32 v69, v69, v72
	v_fmac_f16_e32 v67, 0x3bf1, v36
	v_fmamk_f16 v72, v77, 0x3b15, v75
	v_add_f16_e32 v66, v66, v70
	v_sub_f16_e32 v70, v49, v5
	v_add_f16_e32 v64, v64, v73
	v_mul_f16_e32 v32, 0x3b15, v32
	v_add_f16_e32 v67, v67, v71
	v_add_f16_e32 v71, v72, v74
	;; [unrolled: 1-line block ×3, first 2 shown]
	v_mul_f16_e32 v74, 0xbbf1, v70
	v_add_f16_e32 v5, v49, v5
	v_fmac_f16_e32 v78, 0x394e, v36
	v_fmamk_f16 v72, v36, 0xb770, v32
	v_fma_f16 v49, v77, 0x3b15, -v75
	v_fmac_f16_e32 v32, 0x3770, v36
	v_sub_f16_e32 v31, v31, v41
	v_fmamk_f16 v36, v73, 0x2fb7, v74
	v_mul_f16_e32 v41, 0x2fb7, v5
	v_add_f16_e32 v50, v72, v50
	v_add_f16_e32 v34, v49, v34
	;; [unrolled: 1-line block ×4, first 2 shown]
	v_fmamk_f16 v32, v31, 0x3bf1, v41
	v_mul_f16_e32 v36, 0xb3a8, v70
	v_fma_f16 v49, v73, 0x2fb7, -v74
	v_fmac_f16_e32 v41, 0xbbf1, v31
	v_mul_f16_e32 v72, 0xbbc4, v5
	v_add_f16_e32 v32, v32, v38
	v_fmamk_f16 v38, v73, 0xbbc4, v36
	v_add_f16_e32 v35, v49, v35
	v_add_f16_e32 v41, v41, v47
	v_fmamk_f16 v47, v31, 0x33a8, v72
	v_mul_f16_e32 v49, 0x3b7b, v70
	v_fma_f16 v36, v73, 0xbbc4, -v36
	v_fmac_f16_e32 v72, 0xb3a8, v31
	v_add_f16_e32 v38, v38, v46
	v_add_f16_e32 v46, v47, v57
	v_fmamk_f16 v47, v73, 0xb5ac, v49
	v_mul_f16_e32 v57, 0xb5ac, v5
	v_add_f16_e32 v36, v36, v42
	v_add_f16_e32 v42, v72, v51
	v_mul_f16_e32 v51, 0x3770, v70
	v_add_f16_e32 v47, v47, v59
	v_fmamk_f16 v59, v31, 0xbb7b, v57
	v_fma_f16 v49, v73, 0xb5ac, -v49
	v_fmac_f16_e32 v57, 0x3b7b, v31
	v_fmamk_f16 v72, v73, 0x3b15, v51
	v_mul_f16_e32 v74, 0x3b15, v5
	v_add_f16_e32 v59, v59, v62
	v_add_f16_e32 v49, v49, v61
	;; [unrolled: 1-line block ×4, first 2 shown]
	v_fmamk_f16 v61, v31, 0xb770, v74
	v_mul_f16_e32 v62, 0xba95, v70
	v_fma_f16 v51, v73, 0x3b15, -v51
	v_mul_f16_e32 v63, 0x388b, v5
	v_mul_f16_e32 v70, 0xb94e, v70
	v_add_f16_e32 v61, v61, v65
	v_fmamk_f16 v65, v73, 0x388b, v62
	v_add_f16_e32 v51, v51, v58
	v_fmamk_f16 v58, v31, 0x3a95, v63
	v_fma_f16 v62, v73, 0x388b, -v62
	v_fmac_f16_e32 v63, 0xba95, v31
	v_add_f16_e32 v65, v65, v69
	v_mul_f16_e32 v5, 0xb9fd, v5
	v_add_f16_e32 v58, v58, v64
	v_fmamk_f16 v64, v73, 0xb9fd, v70
	v_add_f16_e32 v62, v62, v66
	v_sub_f16_e32 v66, v15, v4
	v_add_f16_e32 v69, v33, v40
	v_add_f16_e32 v4, v15, v4
	;; [unrolled: 1-line block ×3, first 2 shown]
	v_fmac_f16_e32 v74, 0x3770, v31
	v_mul_f16_e32 v71, 0xbb7b, v66
	v_add_f16_e32 v63, v63, v67
	v_fmamk_f16 v67, v31, 0x394e, v5
	v_fma_f16 v15, v73, 0xb9fd, -v70
	v_fmac_f16_e32 v5, 0xb94e, v31
	v_sub_f16_e32 v31, v33, v40
	v_fmamk_f16 v33, v69, 0xb5ac, v71
	v_mul_f16_e32 v40, 0xb5ac, v4
	v_add_f16_e32 v50, v67, v50
	v_add_f16_e32 v15, v15, v34
	v_add_f16_e32 v5, v5, v26
	v_add_f16_e32 v26, v33, v30
	v_fmamk_f16 v30, v31, 0x3b7b, v40
	v_mul_f16_e32 v33, 0x394e, v66
	v_fma_f16 v34, v69, 0xb5ac, -v71
	v_fmac_f16_e32 v40, 0xbb7b, v31
	v_mul_f16_e32 v67, 0xb9fd, v4
	v_add_f16_e32 v30, v30, v32
	v_fmamk_f16 v32, v69, 0xb9fd, v33
	v_add_f16_e32 v34, v34, v35
	v_add_f16_e32 v35, v40, v41
	v_fmamk_f16 v40, v31, 0xb94e, v67
	v_mul_f16_e32 v41, 0x3770, v66
	v_fma_f16 v33, v69, 0xb9fd, -v33
	v_fmac_f16_e32 v67, 0x394e, v31
	v_add_f16_e32 v32, v32, v38
	v_add_f16_e32 v38, v40, v46
	v_fmamk_f16 v40, v69, 0x3b15, v41
	v_mul_f16_e32 v46, 0x3b15, v4
	v_add_f16_e32 v33, v33, v36
	v_add_f16_e32 v36, v67, v42
	v_mul_f16_e32 v42, 0xbbf1, v66
	v_add_f16_e32 v40, v40, v47
	v_fmamk_f16 v47, v31, 0xb770, v46
	v_fma_f16 v41, v69, 0x3b15, -v41
	v_fmac_f16_e32 v46, 0x3770, v31
	v_fmamk_f16 v67, v69, 0x2fb7, v42
	v_mul_f16_e32 v70, 0x2fb7, v4
	v_add_f16_e32 v47, v47, v59
	v_add_f16_e32 v41, v41, v49
	;; [unrolled: 1-line block ×4, first 2 shown]
	v_fmamk_f16 v57, v31, 0x3bf1, v70
	v_mul_f16_e32 v59, 0x33a8, v66
	v_fma_f16 v42, v69, 0x2fb7, -v42
	v_mul_f16_e32 v60, 0xbbc4, v4
	v_mul_f16_e32 v66, 0x3a95, v66
	v_add_f16_e32 v57, v57, v61
	v_fmamk_f16 v61, v69, 0xbbc4, v59
	v_add_f16_e32 v42, v42, v51
	v_fmamk_f16 v51, v31, 0xb3a8, v60
	v_fma_f16 v59, v69, 0xbbc4, -v59
	v_fmac_f16_e32 v60, 0x33a8, v31
	v_add_f16_e32 v61, v61, v65
	v_mul_f16_e32 v4, 0x388b, v4
	v_add_f16_e32 v51, v51, v58
	v_fmamk_f16 v58, v69, 0x388b, v66
	v_add_f16_e32 v59, v59, v62
	v_sub_f16_e32 v62, v14, v11
	v_add_f16_e32 v11, v14, v11
	v_fmac_f16_e32 v70, 0xbbf1, v31
	v_add_f16_e32 v58, v58, v64
	v_add_f16_e32 v64, v13, v39
	v_mul_f16_e32 v65, 0xb94e, v62
	v_add_f16_e32 v60, v60, v63
	v_fmamk_f16 v63, v31, 0xba95, v4
	v_fma_f16 v14, v69, 0x388b, -v66
	v_fmac_f16_e32 v4, 0x3a95, v31
	v_sub_f16_e32 v13, v13, v39
	v_fmamk_f16 v31, v64, 0xb9fd, v65
	v_mul_f16_e32 v39, 0xb9fd, v11
	v_add_f16_e32 v50, v63, v50
	v_add_f16_e32 v14, v14, v15
	;; [unrolled: 1-line block ×4, first 2 shown]
	v_fmamk_f16 v15, v13, 0x394e, v39
	v_mul_f16_e32 v26, 0x3bf1, v62
	v_fma_f16 v31, v64, 0xb9fd, -v65
	v_fmac_f16_e32 v39, 0xb94e, v13
	v_mul_f16_e32 v63, 0x2fb7, v11
	v_add_f16_e32 v15, v15, v30
	v_fmamk_f16 v30, v64, 0x2fb7, v26
	v_add_f16_e32 v31, v31, v34
	v_add_f16_e32 v34, v39, v35
	v_fmamk_f16 v35, v13, 0xbbf1, v63
	v_mul_f16_e32 v39, 0xba95, v62
	v_add_f16_e32 v30, v30, v32
	v_fma_f16 v26, v64, 0x2fb7, -v26
	v_fmac_f16_e32 v63, 0x3bf1, v13
	v_add_f16_e32 v32, v35, v38
	v_fmamk_f16 v35, v64, 0x388b, v39
	v_mul_f16_e32 v38, 0x388b, v11
	v_add_f16_e32 v33, v26, v33
	v_mul_f16_e32 v26, 0x33a8, v62
	v_mul_f16_e32 v65, 0xbbc4, v11
	v_add_f16_e32 v35, v35, v40
	v_fmamk_f16 v40, v13, 0x3a95, v38
	v_fmac_f16_e32 v38, 0xba95, v13
	v_add_f16_e32 v36, v63, v36
	v_fma_f16 v39, v64, 0x388b, -v39
	v_fmamk_f16 v63, v64, 0xbbc4, v26
	v_add_f16_e32 v40, v40, v47
	v_add_f16_e32 v38, v38, v46
	v_fmamk_f16 v46, v13, 0xb3a8, v65
	v_mul_f16_e32 v47, 0x3770, v62
	v_add_f16_e32 v39, v39, v41
	v_add_f16_e32 v41, v63, v49
	v_fma_f16 v26, v64, 0xbbc4, -v26
	v_mul_f16_e32 v49, 0x3b15, v11
	v_add_f16_e32 v46, v46, v57
	v_fmamk_f16 v57, v64, 0x3b15, v47
	v_fma_f16 v47, v64, 0x3b15, -v47
	v_add_f16_e32 v42, v26, v42
	v_fmamk_f16 v26, v13, 0xb770, v49
	v_mul_f16_e32 v62, 0xbb7b, v62
	v_fmac_f16_e32 v49, 0x3770, v13
	v_add_f16_e32 v47, v47, v59
	v_sub_f16_e32 v59, v9, v10
	v_add_f16_e32 v57, v57, v61
	v_add_f16_e32 v51, v26, v51
	v_fmamk_f16 v26, v64, 0xb5ac, v62
	v_mul_f16_e32 v11, 0xb5ac, v11
	v_add_f16_e32 v49, v49, v60
	v_add_f16_e32 v60, v12, v8
	v_mul_f16_e32 v61, 0xb3a8, v59
	v_add_f16_e32 v9, v9, v10
	v_fmac_f16_e32 v65, 0x33a8, v13
	v_add_f16_e32 v58, v26, v58
	v_fmamk_f16 v26, v13, 0x3b7b, v11
	v_fmac_f16_e32 v11, 0xbb7b, v13
	v_sub_f16_e32 v8, v12, v8
	v_fmamk_f16 v12, v60, 0xbbc4, v61
	v_mul_f16_e32 v13, 0xbbc4, v9
	v_fma_f16 v10, v64, 0xb5ac, -v62
	v_add_f16_e32 v11, v11, v4
	v_add_f16_e32 v50, v26, v50
	;; [unrolled: 1-line block ×3, first 2 shown]
	v_fmamk_f16 v4, v8, 0x33a8, v13
	v_mul_f16_e32 v5, 0x3770, v59
	v_add_f16_e32 v10, v10, v14
	v_fma_f16 v14, v60, 0xbbc4, -v61
	v_fmac_f16_e32 v13, 0xb3a8, v8
	v_add_f16_e32 v15, v4, v15
	v_fmamk_f16 v4, v60, 0x3b15, v5
	v_mul_f16_e32 v61, 0x3b15, v9
	v_add_f16_e32 v26, v14, v31
	v_add_f16_e32 v31, v13, v34
	v_mul_f16_e32 v14, 0xb94e, v59
	v_add_f16_e32 v34, v4, v30
	v_fma_f16 v4, v60, 0x3b15, -v5
	v_mul_f16_e32 v62, 0xb9fd, v9
	v_fmamk_f16 v13, v8, 0xb770, v61
	v_fmac_f16_e32 v61, 0x3770, v8
	v_fmamk_f16 v30, v60, 0xb9fd, v14
	v_add_f16_e32 v5, v4, v33
	v_mul_f16_e32 v33, 0x3a95, v59
	v_fmamk_f16 v4, v8, 0x394e, v62
	v_fmac_f16_e32 v62, 0xb94e, v8
	v_add_f16_e32 v13, v13, v32
	v_add_f16_e32 v32, v61, v36
	;; [unrolled: 1-line block ×3, first 2 shown]
	v_fma_f16 v14, v60, 0xb9fd, -v14
	v_fmamk_f16 v36, v60, 0x388b, v33
	v_mul_f16_e32 v61, 0x388b, v9
	v_add_f16_e32 v30, v62, v38
	v_mul_f16_e32 v38, 0xbb7b, v59
	v_add_f16_e32 v68, v78, v68
	v_add_f16_e32 v40, v4, v40
	;; [unrolled: 1-line block ×4, first 2 shown]
	v_fmamk_f16 v36, v8, 0xba95, v61
	v_mul_f16_e32 v39, 0xb5ac, v9
	v_fmamk_f16 v41, v60, 0xb5ac, v38
	v_add_f16_e32 v68, v74, v68
	v_fma_f16 v38, v60, 0xb5ac, -v38
	v_add_f16_e32 v36, v36, v46
	v_fmamk_f16 v46, v8, 0x3b7b, v39
	v_add_f16_e32 v41, v41, v57
	v_mul_f16_e32 v57, 0x3bf1, v59
	v_mul_f16_e32 v9, 0x2fb7, v9
	v_add_f16_e32 v67, v70, v68
	v_add_f16_e32 v46, v46, v51
	;; [unrolled: 1-line block ×3, first 2 shown]
	v_fmac_f16_e32 v39, 0xbb7b, v8
	v_fmamk_f16 v47, v60, 0x2fb7, v57
	v_fmamk_f16 v51, v8, 0xbbf1, v9
	v_fma_f16 v57, v60, 0x2fb7, -v57
	v_fmac_f16_e32 v9, 0x3bf1, v8
	v_add_f16_e32 v63, v65, v67
	v_fma_f16 v33, v60, 0x388b, -v33
	v_fmac_f16_e32 v61, 0x3a95, v8
	v_pack_b32_f16 v6, v6, v7
	v_pack_b32_f16 v7, v12, v15
	v_add_f16_e32 v8, v39, v49
	v_add_f16_e32 v39, v47, v58
	;; [unrolled: 1-line block ×5, first 2 shown]
	v_pack_b32_f16 v11, v34, v13
	v_pack_b32_f16 v12, v35, v40
	v_add_f16_e32 v33, v33, v42
	v_add_f16_e32 v42, v61, v63
	ds_write2_b32 v53, v6, v7 offset1:17
	ds_write2_b32 v53, v11, v12 offset0:34 offset1:51
	v_pack_b32_f16 v6, v14, v36
	v_pack_b32_f16 v7, v41, v46
	;; [unrolled: 1-line block ×9, first 2 shown]
	ds_write2_b32 v53, v6, v7 offset0:68 offset1:85
	ds_write2_b32 v53, v11, v9 offset0:102 offset1:119
	;; [unrolled: 1-line block ×4, first 2 shown]
	ds_write_b32 v53, v14 offset:816
	v_add_nc_u32_e32 v8, 0x200, v48
	s_waitcnt lgkmcnt(0)
	s_barrier
	buffer_gl0_inv
	ds_read2_b32 v[6:7], v48 offset1:85
	ds_read2_b32 v[12:13], v8 offset0:93 offset1:178
	ds_read2_b32 v[14:15], v25 offset0:58 offset1:143
	;; [unrolled: 1-line block ×4, first 2 shown]
	v_add_nc_u32_e32 v25, 0x154, v54
	s_and_saveexec_b32 s1, s0
	s_cbranch_execz .LBB0_19
; %bb.18:
	v_add_nc_u32_e32 v4, 0x280, v48
	v_add_nc_u32_e32 v26, 0x980, v48
	ds_read2_b32 v[4:5], v4 offset0:10 offset1:231
	ds_read2_b32 v[26:27], v26 offset0:4 offset1:225
	ds_read_b32 v37, v48 offset:4216
	s_waitcnt lgkmcnt(2)
	v_lshrrev_b32_e32 v30, 16, v4
	v_lshrrev_b32_e32 v32, 16, v5
	s_waitcnt lgkmcnt(1)
	v_lshrrev_b32_e32 v31, 16, v26
	v_lshrrev_b32_e32 v56, 16, v27
	s_waitcnt lgkmcnt(0)
	v_lshrrev_b32_e32 v55, 16, v37
.LBB0_19:
	s_or_b32 exec_lo, exec_lo, s1
	s_waitcnt lgkmcnt(3)
	v_lshrrev_b32_e32 v29, 16, v12
	s_waitcnt lgkmcnt(2)
	v_lshrrev_b32_e32 v33, 16, v14
	;; [unrolled: 2-line block ×4, first 2 shown]
	v_mul_f16_sdwa v40, v20, v12 dst_sel:DWORD dst_unused:UNUSED_PAD src0_sel:WORD_1 src1_sel:DWORD
	v_mul_f16_sdwa v39, v20, v29 dst_sel:DWORD dst_unused:UNUSED_PAD src0_sel:WORD_1 src1_sel:DWORD
	v_lshrrev_b32_e32 v38, 16, v13
	v_mul_f16_sdwa v47, v22, v10 dst_sel:DWORD dst_unused:UNUSED_PAD src0_sel:WORD_1 src1_sel:DWORD
	v_mul_f16_sdwa v48, v23, v35 dst_sel:DWORD dst_unused:UNUSED_PAD src0_sel:WORD_1 src1_sel:DWORD
	v_lshrrev_b32_e32 v41, 16, v15
	v_fmac_f16_e32 v39, v20, v12
	v_fma_f16 v12, v20, v29, -v40
	v_mul_f16_sdwa v20, v21, v33 dst_sel:DWORD dst_unused:UNUSED_PAD src0_sel:WORD_1 src1_sel:DWORD
	v_mul_f16_sdwa v29, v21, v14 dst_sel:DWORD dst_unused:UNUSED_PAD src0_sel:WORD_1 src1_sel:DWORD
	;; [unrolled: 1-line block ×3, first 2 shown]
	v_fmac_f16_e32 v48, v23, v8
	v_mul_f16_sdwa v8, v23, v8 dst_sel:DWORD dst_unused:UNUSED_PAD src0_sel:WORD_1 src1_sel:DWORD
	v_fmac_f16_e32 v20, v21, v14
	v_fma_f16 v14, v21, v33, -v29
	v_fmac_f16_e32 v40, v22, v10
	v_fma_f16 v10, v22, v34, -v47
	v_mul_f16_sdwa v21, v16, v38 dst_sel:DWORD dst_unused:UNUSED_PAD src0_sel:WORD_1 src1_sel:DWORD
	v_mul_f16_sdwa v22, v16, v13 dst_sel:DWORD dst_unused:UNUSED_PAD src0_sel:WORD_1 src1_sel:DWORD
	v_lshrrev_b32_e32 v42, 16, v11
	v_lshrrev_b32_e32 v46, 16, v9
	v_mul_f16_sdwa v29, v17, v41 dst_sel:DWORD dst_unused:UNUSED_PAD src0_sel:WORD_1 src1_sel:DWORD
	v_mul_f16_sdwa v33, v17, v15 dst_sel:DWORD dst_unused:UNUSED_PAD src0_sel:WORD_1 src1_sel:DWORD
	v_fma_f16 v8, v23, v35, -v8
	v_fmac_f16_e32 v21, v16, v13
	v_fma_f16 v13, v16, v38, -v22
	v_add_f16_e32 v16, v20, v40
	v_lshrrev_b32_e32 v28, 16, v6
	v_fmac_f16_e32 v29, v17, v15
	v_fma_f16 v15, v17, v41, -v33
	v_mul_f16_sdwa v17, v18, v42 dst_sel:DWORD dst_unused:UNUSED_PAD src0_sel:WORD_1 src1_sel:DWORD
	v_mul_f16_sdwa v22, v18, v11 dst_sel:DWORD dst_unused:UNUSED_PAD src0_sel:WORD_1 src1_sel:DWORD
	;; [unrolled: 1-line block ×3, first 2 shown]
	v_add_f16_e32 v33, v6, v39
	v_fma_f16 v16, -0.5, v16, v6
	v_sub_f16_e32 v34, v12, v8
	v_add_f16_e32 v41, v39, v48
	v_fmac_f16_e32 v17, v18, v11
	v_fma_f16 v11, v18, v42, -v22
	v_fmac_f16_e32 v23, v19, v9
	v_add_f16_e32 v18, v33, v20
	v_fmamk_f16 v22, v34, 0xbb9c, v16
	v_sub_f16_e32 v33, v14, v10
	v_mul_f16_sdwa v9, v19, v9 dst_sel:DWORD dst_unused:UNUSED_PAD src0_sel:WORD_1 src1_sel:DWORD
	v_fma_f16 v6, -0.5, v41, v6
	v_fmac_f16_e32 v16, 0x3b9c, v34
	v_add_f16_e32 v42, v28, v12
	v_sub_f16_e32 v35, v39, v20
	v_sub_f16_e32 v38, v48, v40
	v_fmac_f16_e32 v22, 0xb8b4, v33
	v_fma_f16 v9, v19, v46, -v9
	v_fmamk_f16 v19, v33, 0x3b9c, v6
	v_fmac_f16_e32 v16, 0x38b4, v33
	v_fmac_f16_e32 v6, 0xbb9c, v33
	v_add_f16_e32 v33, v42, v14
	v_add_f16_e32 v35, v35, v38
	v_sub_f16_e32 v38, v20, v39
	v_sub_f16_e32 v41, v40, v48
	v_add_f16_e32 v46, v14, v10
	v_add_f16_e32 v33, v33, v10
	;; [unrolled: 1-line block ×3, first 2 shown]
	v_fmac_f16_e32 v22, 0x34f2, v35
	v_add_f16_e32 v38, v38, v41
	v_fma_f16 v41, -0.5, v46, v28
	v_sub_f16_e32 v39, v39, v48
	v_fmac_f16_e32 v16, 0x34f2, v35
	v_add_f16_e32 v35, v12, v8
	v_sub_f16_e32 v20, v20, v40
	v_sub_f16_e32 v40, v12, v14
	;; [unrolled: 1-line block ×3, first 2 shown]
	v_add_f16_e32 v33, v33, v8
	v_sub_f16_e32 v12, v14, v12
	v_sub_f16_e32 v8, v10, v8
	v_fmac_f16_e32 v19, 0xb8b4, v34
	v_fmac_f16_e32 v6, 0x38b4, v34
	v_fmamk_f16 v34, v39, 0x3b9c, v41
	v_fmac_f16_e32 v28, -0.5, v35
	v_fmac_f16_e32 v41, 0xbb9c, v39
	v_add_f16_e32 v10, v29, v17
	v_add_f16_e32 v8, v12, v8
	;; [unrolled: 1-line block ×3, first 2 shown]
	v_lshrrev_b32_e32 v36, 16, v7
	v_fmac_f16_e32 v19, 0x34f2, v38
	v_fmac_f16_e32 v6, 0x34f2, v38
	;; [unrolled: 1-line block ×3, first 2 shown]
	v_add_f16_e32 v35, v40, v42
	v_fmamk_f16 v38, v20, 0xbb9c, v28
	v_fmac_f16_e32 v41, 0xb8b4, v20
	v_fma_f16 v10, -0.5, v10, v7
	v_sub_f16_e32 v14, v13, v9
	v_fmac_f16_e32 v28, 0x3b9c, v20
	v_add_f16_e32 v12, v12, v29
	v_add_f16_e32 v46, v21, v23
	v_fmac_f16_e32 v34, 0x34f2, v35
	v_fmac_f16_e32 v38, 0x38b4, v39
	;; [unrolled: 1-line block ×3, first 2 shown]
	v_fmamk_f16 v20, v14, 0xbb9c, v10
	v_sub_f16_e32 v35, v15, v11
	v_fmac_f16_e32 v28, 0xb8b4, v39
	v_add_f16_e32 v12, v12, v17
	v_fmac_f16_e32 v7, -0.5, v46
	v_fmac_f16_e32 v10, 0x3b9c, v14
	v_add_f16_e32 v46, v36, v13
	v_fmac_f16_e32 v38, 0x34f2, v8
	v_sub_f16_e32 v40, v21, v29
	v_sub_f16_e32 v42, v23, v17
	v_fmac_f16_e32 v20, 0xb8b4, v35
	v_fmac_f16_e32 v28, 0x34f2, v8
	v_add_f16_e32 v8, v12, v23
	v_fmamk_f16 v12, v35, 0x3b9c, v7
	v_fmac_f16_e32 v10, 0x38b4, v35
	v_fmac_f16_e32 v7, 0xbb9c, v35
	v_add_f16_e32 v35, v46, v15
	v_add_f16_e32 v39, v40, v42
	v_sub_f16_e32 v40, v29, v21
	v_sub_f16_e32 v42, v17, v23
	v_add_f16_e32 v47, v15, v11
	v_fmac_f16_e32 v12, 0xb8b4, v14
	v_fmac_f16_e32 v7, 0x38b4, v14
	v_add_f16_e32 v14, v35, v11
	v_add_f16_e32 v35, v13, v9
	;; [unrolled: 1-line block ×3, first 2 shown]
	v_fma_f16 v42, -0.5, v47, v36
	v_sub_f16_e32 v21, v21, v23
	v_sub_f16_e32 v17, v29, v17
	v_fmac_f16_e32 v36, -0.5, v35
	v_fmac_f16_e32 v20, 0x34f2, v39
	v_fmac_f16_e32 v10, 0x34f2, v39
	v_fmamk_f16 v23, v21, 0x3b9c, v42
	v_sub_f16_e32 v29, v13, v15
	v_sub_f16_e32 v39, v9, v11
	v_add_f16_e32 v14, v14, v9
	v_fmamk_f16 v35, v17, 0xbb9c, v36
	v_sub_f16_e32 v13, v15, v13
	v_sub_f16_e32 v9, v11, v9
	v_fmac_f16_e32 v42, 0xbb9c, v21
	v_fmac_f16_e32 v36, 0x3b9c, v17
	;; [unrolled: 1-line block ×3, first 2 shown]
	v_add_f16_e32 v29, v29, v39
	v_fmac_f16_e32 v35, 0x38b4, v21
	v_add_f16_e32 v9, v13, v9
	v_fmac_f16_e32 v42, 0xb8b4, v17
	v_fmac_f16_e32 v36, 0xb8b4, v21
	v_pack_b32_f16 v11, v22, v34
	v_pack_b32_f16 v13, v19, v38
	v_add_nc_u32_e32 v15, 0x300, v52
	v_add_f16_e32 v18, v18, v48
	v_fmac_f16_e32 v12, 0x34f2, v40
	v_fmac_f16_e32 v23, 0x34f2, v29
	v_fmac_f16_e32 v35, 0x34f2, v9
	v_fmac_f16_e32 v7, 0x34f2, v40
	v_fmac_f16_e32 v42, 0x34f2, v29
	v_fmac_f16_e32 v36, 0x34f2, v9
	ds_write2_b32 v15, v11, v13 offset0:29 offset1:250
	v_pack_b32_f16 v11, v6, v28
	v_pack_b32_f16 v13, v16, v41
	v_add_nc_u32_e32 v15, 0xa00, v52
	v_lshl_add_u32 v6, v45, 2, v43
	v_pack_b32_f16 v9, v18, v33
	v_pack_b32_f16 v8, v8, v14
	;; [unrolled: 1-line block ×4, first 2 shown]
	v_add_nc_u32_e32 v16, 0x300, v25
	v_pack_b32_f16 v7, v7, v36
	v_pack_b32_f16 v10, v10, v42
	v_add_nc_u32_e32 v17, 0xa00, v25
	ds_write2_b32 v15, v11, v13 offset0:23 offset1:244
	ds_write2_b32 v52, v9, v8 offset1:85
	ds_write2_b32 v16, v14, v12 offset0:29 offset1:250
	ds_write2_b32 v17, v7, v10 offset0:23 offset1:244
	s_and_saveexec_b32 s1, s0
	s_cbranch_execz .LBB0_21
; %bb.20:
	v_mul_f16_sdwa v7, v1, v26 dst_sel:DWORD dst_unused:UNUSED_PAD src0_sel:WORD_1 src1_sel:DWORD
	v_mul_f16_sdwa v8, v0, v5 dst_sel:DWORD dst_unused:UNUSED_PAD src0_sel:WORD_1 src1_sel:DWORD
	;; [unrolled: 1-line block ×5, first 2 shown]
	v_fma_f16 v7, v1, v31, -v7
	v_fma_f16 v8, v0, v32, -v8
	v_mul_f16_sdwa v11, v1, v31 dst_sel:DWORD dst_unused:UNUSED_PAD src0_sel:WORD_1 src1_sel:DWORD
	v_fma_f16 v10, v3, v55, -v10
	v_fma_f16 v9, v2, v56, -v9
	v_fmac_f16_e32 v12, v2, v27
	v_mul_f16_sdwa v2, v0, v32 dst_sel:DWORD dst_unused:UNUSED_PAD src0_sel:WORD_1 src1_sel:DWORD
	v_mul_f16_sdwa v14, v3, v55 dst_sel:DWORD dst_unused:UNUSED_PAD src0_sel:WORD_1 src1_sel:DWORD
	v_sub_f16_e32 v13, v7, v8
	v_fmac_f16_e32 v11, v1, v26
	v_add_f16_e32 v1, v8, v10
	v_sub_f16_e32 v15, v9, v10
	v_fmac_f16_e32 v2, v0, v5
	v_fmac_f16_e32 v14, v3, v37
	v_add_f16_e32 v0, v7, v9
	v_sub_f16_e32 v16, v11, v12
	v_fma_f16 v1, -0.5, v1, v30
	v_add_f16_e32 v3, v13, v15
	v_sub_f16_e32 v13, v2, v14
	v_fma_f16 v0, -0.5, v0, v30
	v_sub_f16_e32 v15, v8, v7
	v_fmamk_f16 v5, v16, 0x3b9c, v1
	v_fmac_f16_e32 v1, 0xbb9c, v16
	v_sub_f16_e32 v17, v10, v9
	v_fmamk_f16 v18, v13, 0xbb9c, v0
	v_add_f16_e32 v19, v30, v8
	v_fmac_f16_e32 v0, 0x3b9c, v13
	v_fmac_f16_e32 v5, 0xb8b4, v13
	;; [unrolled: 1-line block ×3, first 2 shown]
	v_add_f16_e32 v15, v15, v17
	v_fmac_f16_e32 v18, 0xb8b4, v16
	v_add_f16_e32 v13, v19, v7
	v_fmac_f16_e32 v0, 0x38b4, v16
	v_fmac_f16_e32 v5, 0x34f2, v3
	;; [unrolled: 1-line block ×4, first 2 shown]
	v_add_f16_e32 v3, v13, v9
	v_fmac_f16_e32 v0, 0x34f2, v15
	v_add_f16_e32 v15, v2, v14
	v_add_f16_e32 v17, v11, v12
	v_sub_f16_e32 v13, v11, v2
	v_sub_f16_e32 v16, v12, v14
	v_add_f16_e32 v3, v3, v10
	v_sub_f16_e32 v8, v8, v10
	v_fma_f16 v10, -0.5, v15, v4
	v_fma_f16 v15, -0.5, v17, v4
	v_add_f16_e32 v4, v4, v2
	v_sub_f16_e32 v7, v7, v9
	v_add_f16_e32 v13, v13, v16
	v_sub_f16_e32 v2, v2, v11
	v_sub_f16_e32 v9, v14, v12
	v_fmamk_f16 v16, v8, 0x3b9c, v15
	v_add_f16_e32 v4, v4, v11
	v_fmac_f16_e32 v15, 0xbb9c, v8
	v_fmamk_f16 v11, v7, 0xbb9c, v10
	v_fmac_f16_e32 v10, 0x3b9c, v7
	v_add_f16_e32 v2, v2, v9
	v_add_f16_e32 v4, v4, v12
	v_fmac_f16_e32 v15, 0xb8b4, v7
	v_fmac_f16_e32 v11, 0x38b4, v8
	;; [unrolled: 1-line block ×4, first 2 shown]
	v_add_f16_e32 v4, v4, v14
	v_fmac_f16_e32 v15, 0x34f2, v2
	v_fmac_f16_e32 v11, 0x34f2, v13
	;; [unrolled: 1-line block ×4, first 2 shown]
	v_pack_b32_f16 v2, v4, v3
	v_pack_b32_f16 v0, v15, v0
	v_add_nc_u32_e32 v3, 0x280, v6
	v_pack_b32_f16 v1, v10, v1
	v_pack_b32_f16 v4, v11, v5
	v_add_nc_u32_e32 v5, 0x980, v6
	v_pack_b32_f16 v7, v16, v18
	ds_write2_b32 v3, v2, v0 offset0:10 offset1:231
	ds_write2_b32 v5, v1, v4 offset0:4 offset1:225
	ds_write_b32 v6, v7 offset:4216
.LBB0_21:
	s_or_b32 exec_lo, exec_lo, s1
	s_waitcnt lgkmcnt(0)
	s_barrier
	buffer_gl0_inv
	s_and_b32 exec_lo, exec_lo, vcc_lo
	s_cbranch_execz .LBB0_23
; %bb.22:
	global_load_dword v0, v43, s[8:9]
	ds_read_b32 v1, v52
	s_mov_b32 s12, 0x1da7801e
	s_mov_b32 s13, 0x3f4da780
	v_mad_u64_u32 v[7:8], null, s4, v44, 0
	s_mul_hi_u32 s3, s4, 0x104
	s_mulk_i32 s4, 0x104
	s_waitcnt lgkmcnt(0)
	v_lshrrev_b32_e32 v2, 16, v1
	s_waitcnt vmcnt(0)
	v_mul_f16_sdwa v3, v2, v0 dst_sel:DWORD dst_unused:UNUSED_PAD src0_sel:DWORD src1_sel:WORD_1
	v_mul_f16_sdwa v4, v1, v0 dst_sel:DWORD dst_unused:UNUSED_PAD src0_sel:DWORD src1_sel:WORD_1
	v_fmac_f16_e32 v3, v1, v0
	v_fma_f16 v0, v0, v2, -v4
	v_mad_u64_u32 v[4:5], null, s6, v24, 0
	v_cvt_f32_f16_e32 v1, v3
	v_cvt_f32_f16_e32 v2, v0
	v_cvt_f64_f32_e32 v[0:1], v1
	v_cvt_f64_f32_e32 v[2:3], v2
	v_mul_f64 v[0:1], v[0:1], s[12:13]
	v_mul_f64 v[2:3], v[2:3], s[12:13]
	v_and_or_b32 v0, 0x1ff, v1, v0
	v_and_or_b32 v2, 0x1ff, v3, v2
	v_lshrrev_b32_e32 v9, 8, v1
	v_bfe_u32 v11, v1, 20, 11
	v_lshrrev_b32_e32 v10, 8, v3
	v_cmp_ne_u32_e32 vcc_lo, 0, v0
	v_bfe_u32 v12, v3, 20, 11
	v_mov_b32_e32 v0, v8
	v_sub_nc_u32_e32 v14, 0x3f1, v11
	v_add_nc_u32_e32 v11, 0xfffffc10, v11
	v_cndmask_b32_e64 v13, 0, 1, vcc_lo
	v_cmp_ne_u32_e32 vcc_lo, 0, v2
	v_sub_nc_u32_e32 v15, 0x3f1, v12
	v_med3_i32 v14, v14, 0, 13
	v_add_nc_u32_e32 v12, 0xfffffc10, v12
	v_and_or_b32 v13, 0xffe, v9, v13
	v_cndmask_b32_e64 v2, 0, 1, vcc_lo
	v_mad_u64_u32 v[8:9], null, s7, v24, v[5:6]
	v_med3_i32 v15, v15, 0, 13
	v_or_b32_e32 v16, 0x1000, v13
	v_and_or_b32 v2, 0xffe, v10, v2
	v_mad_u64_u32 v[9:10], null, s5, v44, v[0:1]
	v_lshrrev_b32_e32 v3, 16, v3
	v_lshrrev_b32_e32 v0, v14, v16
	v_or_b32_e32 v17, 0x1000, v2
	v_mov_b32_e32 v5, v8
	v_mov_b32_e32 v8, v9
	v_lshrrev_b32_e32 v10, v15, v17
	v_lshlrev_b32_e32 v14, v14, v0
	v_lshlrev_b64 v[4:5], 2, v[4:5]
	v_lshlrev_b32_e32 v9, v15, v10
	v_cmp_ne_u32_e32 vcc_lo, v14, v16
	v_lshl_or_b32 v15, v11, 12, v13
	v_cndmask_b32_e64 v14, 0, 1, vcc_lo
	v_cmp_ne_u32_e32 vcc_lo, v9, v17
	v_or_b32_e32 v0, v0, v14
	v_cndmask_b32_e64 v9, 0, 1, vcc_lo
	v_cmp_gt_i32_e32 vcc_lo, 1, v11
	v_lshl_or_b32 v14, v12, 12, v2
	v_or_b32_e32 v9, v10, v9
	v_cndmask_b32_e32 v0, v15, v0, vcc_lo
	v_cmp_gt_i32_e32 vcc_lo, 1, v12
	v_lshrrev_b32_e32 v10, 16, v1
	v_cndmask_b32_e32 v1, v14, v9, vcc_lo
	v_cmp_ne_u32_e32 vcc_lo, 0, v13
	v_and_b32_e32 v13, 7, v0
	v_lshrrev_b32_e32 v0, 2, v0
	v_and_b32_e32 v14, 7, v1
	v_cndmask_b32_e64 v9, 0, 1, vcc_lo
	v_cmp_ne_u32_e32 vcc_lo, 0, v2
	v_cmp_eq_u32_e64 s0, 3, v13
	v_lshrrev_b32_e32 v1, 2, v1
	v_cmp_lt_i32_e64 s1, 5, v14
	v_cmp_eq_u32_e64 s2, 3, v14
	v_cndmask_b32_e64 v2, 0, 1, vcc_lo
	v_cmp_lt_i32_e32 vcc_lo, 5, v13
	v_lshl_or_b32 v9, v9, 9, 0x7c00
	v_lshl_or_b32 v2, v2, 9, 0x7c00
	s_or_b32 vcc_lo, s0, vcc_lo
	v_add_co_ci_u32_e32 v0, vcc_lo, 0, v0, vcc_lo
	s_or_b32 vcc_lo, s2, s1
	v_add_co_ci_u32_e32 v1, vcc_lo, 0, v1, vcc_lo
	v_cmp_gt_i32_e32 vcc_lo, 31, v11
	v_cndmask_b32_e32 v0, 0x7c00, v0, vcc_lo
	v_cmp_gt_i32_e32 vcc_lo, 31, v12
	v_cndmask_b32_e32 v13, 0x7c00, v1, vcc_lo
	v_cmp_eq_u32_e32 vcc_lo, 0x40f, v11
	v_cndmask_b32_e32 v9, v0, v9, vcc_lo
	v_cmp_eq_u32_e32 vcc_lo, 0x40f, v12
	v_lshlrev_b64 v[0:1], 2, v[7:8]
	v_and_or_b32 v7, 0x8000, v10, v9
	v_cndmask_b32_e32 v2, v13, v2, vcc_lo
	v_add_co_u32 v4, vcc_lo, s10, v4
	v_add_co_ci_u32_e32 v5, vcc_lo, s11, v5, vcc_lo
	v_and_or_b32 v2, 0x8000, v3, v2
	v_and_b32_e32 v3, 0xffff, v7
	v_add_co_u32 v0, vcc_lo, v4, v0
	v_add_co_ci_u32_e32 v1, vcc_lo, v5, v1, vcc_lo
	v_lshl_or_b32 v2, v2, 16, v3
	global_store_dword v[0:1], v2, off
	global_load_dword v4, v43, s[8:9] offset:260
	ds_read2_b32 v[2:3], v6 offset0:65 offset1:130
	s_waitcnt lgkmcnt(0)
	v_lshrrev_b32_e32 v5, 16, v2
	s_waitcnt vmcnt(0)
	v_mul_f16_sdwa v7, v5, v4 dst_sel:DWORD dst_unused:UNUSED_PAD src0_sel:DWORD src1_sel:WORD_1
	v_mul_f16_sdwa v8, v2, v4 dst_sel:DWORD dst_unused:UNUSED_PAD src0_sel:DWORD src1_sel:WORD_1
	v_fmac_f16_e32 v7, v2, v4
	v_fma_f16 v2, v4, v5, -v8
	v_cvt_f32_f16_e32 v4, v7
	v_cvt_f32_f16_e32 v2, v2
	v_cvt_f64_f32_e32 v[4:5], v4
	v_cvt_f64_f32_e32 v[7:8], v2
	v_mul_f64 v[4:5], v[4:5], s[12:13]
	v_mul_f64 v[7:8], v[7:8], s[12:13]
	v_and_or_b32 v2, 0x1ff, v5, v4
	v_and_or_b32 v7, 0x1ff, v8, v7
	v_lshrrev_b32_e32 v4, 8, v5
	v_bfe_u32 v9, v5, 20, 11
	v_lshrrev_b32_e32 v10, 8, v8
	v_cmp_ne_u32_e32 vcc_lo, 0, v2
	v_bfe_u32 v11, v8, 20, 11
	v_lshrrev_b32_e32 v5, 16, v5
	v_sub_nc_u32_e32 v12, 0x3f1, v9
	v_add_nc_u32_e32 v9, 0xfffffc10, v9
	v_cndmask_b32_e64 v2, 0, 1, vcc_lo
	v_cmp_ne_u32_e32 vcc_lo, 0, v7
	v_lshrrev_b32_e32 v8, 16, v8
	v_and_or_b32 v2, 0xffe, v4, v2
	v_cndmask_b32_e64 v7, 0, 1, vcc_lo
	v_sub_nc_u32_e32 v4, 0x3f1, v11
	v_add_nc_u32_e32 v11, 0xfffffc10, v11
	v_and_or_b32 v7, 0xffe, v10, v7
	v_med3_i32 v10, v12, 0, 13
	v_or_b32_e32 v12, 0x1000, v2
	v_med3_i32 v4, v4, 0, 13
	v_or_b32_e32 v13, 0x1000, v7
	v_lshrrev_b32_e32 v14, v10, v12
	v_lshrrev_b32_e32 v15, v4, v13
	v_lshlrev_b32_e32 v10, v10, v14
	v_lshlrev_b32_e32 v4, v4, v15
	v_cmp_ne_u32_e32 vcc_lo, v10, v12
	v_lshl_or_b32 v12, v9, 12, v2
	v_cndmask_b32_e64 v10, 0, 1, vcc_lo
	v_cmp_ne_u32_e32 vcc_lo, v4, v13
	v_lshl_or_b32 v13, v11, 12, v7
	v_or_b32_e32 v10, v14, v10
	v_cndmask_b32_e64 v4, 0, 1, vcc_lo
	v_cmp_gt_i32_e32 vcc_lo, 1, v9
	v_or_b32_e32 v4, v15, v4
	v_cndmask_b32_e32 v10, v12, v10, vcc_lo
	v_cmp_gt_i32_e32 vcc_lo, 1, v11
	v_and_b32_e32 v12, 7, v10
	v_cndmask_b32_e32 v4, v13, v4, vcc_lo
	v_cmp_ne_u32_e32 vcc_lo, 0, v2
	v_lshrrev_b32_e32 v10, 2, v10
	v_cmp_eq_u32_e64 s0, 3, v12
	v_and_b32_e32 v13, 7, v4
	v_cndmask_b32_e64 v2, 0, 1, vcc_lo
	v_cmp_ne_u32_e32 vcc_lo, 0, v7
	v_lshrrev_b32_e32 v4, 2, v4
	v_cmp_lt_i32_e64 s1, 5, v13
	v_cmp_eq_u32_e64 s2, 3, v13
	v_cndmask_b32_e64 v7, 0, 1, vcc_lo
	v_cmp_lt_i32_e32 vcc_lo, 5, v12
	v_lshl_or_b32 v2, v2, 9, 0x7c00
	v_lshl_or_b32 v7, v7, 9, 0x7c00
	s_or_b32 vcc_lo, s0, vcc_lo
	s_mul_i32 s0, s5, 0x104
	v_add_co_ci_u32_e32 v10, vcc_lo, 0, v10, vcc_lo
	s_or_b32 vcc_lo, s2, s1
	s_add_i32 s3, s3, s0
	v_add_co_ci_u32_e32 v4, vcc_lo, 0, v4, vcc_lo
	v_cmp_gt_i32_e32 vcc_lo, 31, v9
	v_cndmask_b32_e32 v10, 0x7c00, v10, vcc_lo
	v_cmp_gt_i32_e32 vcc_lo, 31, v11
	v_cndmask_b32_e32 v4, 0x7c00, v4, vcc_lo
	v_cmp_eq_u32_e32 vcc_lo, 0x40f, v9
	v_cndmask_b32_e32 v2, v10, v2, vcc_lo
	v_cmp_eq_u32_e32 vcc_lo, 0x40f, v11
	v_and_or_b32 v2, 0x8000, v5, v2
	v_cndmask_b32_e32 v4, v4, v7, vcc_lo
	v_add_co_u32 v0, vcc_lo, v0, s4
	v_add_co_ci_u32_e32 v1, vcc_lo, s3, v1, vcc_lo
	v_and_or_b32 v4, 0x8000, v8, v4
	v_and_b32_e32 v2, 0xffff, v2
	v_lshl_or_b32 v2, v4, 16, v2
	v_lshrrev_b32_e32 v4, 16, v3
	global_store_dword v[0:1], v2, off
	global_load_dword v2, v43, s[8:9] offset:520
	s_waitcnt vmcnt(0)
	v_mul_f16_sdwa v5, v4, v2 dst_sel:DWORD dst_unused:UNUSED_PAD src0_sel:DWORD src1_sel:WORD_1
	v_mul_f16_sdwa v7, v3, v2 dst_sel:DWORD dst_unused:UNUSED_PAD src0_sel:DWORD src1_sel:WORD_1
	v_fmac_f16_e32 v5, v3, v2
	v_fma_f16 v2, v2, v4, -v7
	v_cvt_f32_f16_e32 v3, v5
	v_cvt_f32_f16_e32 v4, v2
	v_cvt_f64_f32_e32 v[2:3], v3
	v_cvt_f64_f32_e32 v[4:5], v4
	v_mul_f64 v[2:3], v[2:3], s[12:13]
	v_mul_f64 v[4:5], v[4:5], s[12:13]
	v_and_or_b32 v2, 0x1ff, v3, v2
	v_and_or_b32 v4, 0x1ff, v5, v4
	v_lshrrev_b32_e32 v7, 8, v3
	v_bfe_u32 v8, v3, 20, 11
	v_lshrrev_b32_e32 v9, 8, v5
	v_cmp_ne_u32_e32 vcc_lo, 0, v2
	v_bfe_u32 v10, v5, 20, 11
	v_lshrrev_b32_e32 v3, 16, v3
	v_sub_nc_u32_e32 v11, 0x3f1, v8
	v_add_nc_u32_e32 v8, 0xfffffc10, v8
	v_cndmask_b32_e64 v2, 0, 1, vcc_lo
	v_cmp_ne_u32_e32 vcc_lo, 0, v4
	v_lshrrev_b32_e32 v5, 16, v5
	v_and_or_b32 v2, 0xffe, v7, v2
	v_cndmask_b32_e64 v4, 0, 1, vcc_lo
	v_sub_nc_u32_e32 v7, 0x3f1, v10
	v_add_nc_u32_e32 v10, 0xfffffc10, v10
	v_and_or_b32 v4, 0xffe, v9, v4
	v_med3_i32 v9, v11, 0, 13
	v_or_b32_e32 v11, 0x1000, v2
	v_med3_i32 v7, v7, 0, 13
	v_or_b32_e32 v12, 0x1000, v4
	v_lshrrev_b32_e32 v13, v9, v11
	v_lshrrev_b32_e32 v14, v7, v12
	v_lshlrev_b32_e32 v9, v9, v13
	v_lshlrev_b32_e32 v7, v7, v14
	v_cmp_ne_u32_e32 vcc_lo, v9, v11
	v_lshl_or_b32 v11, v8, 12, v2
	v_cndmask_b32_e64 v9, 0, 1, vcc_lo
	v_cmp_ne_u32_e32 vcc_lo, v7, v12
	v_lshl_or_b32 v12, v10, 12, v4
	v_or_b32_e32 v9, v13, v9
	v_cndmask_b32_e64 v7, 0, 1, vcc_lo
	v_cmp_gt_i32_e32 vcc_lo, 1, v8
	v_or_b32_e32 v7, v14, v7
	v_cndmask_b32_e32 v9, v11, v9, vcc_lo
	v_cmp_gt_i32_e32 vcc_lo, 1, v10
	v_and_b32_e32 v11, 7, v9
	v_cndmask_b32_e32 v7, v12, v7, vcc_lo
	v_cmp_ne_u32_e32 vcc_lo, 0, v2
	v_lshrrev_b32_e32 v9, 2, v9
	v_cmp_eq_u32_e64 s0, 3, v11
	v_and_b32_e32 v12, 7, v7
	v_cndmask_b32_e64 v2, 0, 1, vcc_lo
	v_cmp_ne_u32_e32 vcc_lo, 0, v4
	v_lshrrev_b32_e32 v7, 2, v7
	v_cmp_lt_i32_e64 s1, 5, v12
	v_cmp_eq_u32_e64 s2, 3, v12
	v_cndmask_b32_e64 v4, 0, 1, vcc_lo
	v_cmp_lt_i32_e32 vcc_lo, 5, v11
	v_lshl_or_b32 v2, v2, 9, 0x7c00
	v_lshl_or_b32 v4, v4, 9, 0x7c00
	s_or_b32 vcc_lo, s0, vcc_lo
	v_add_co_ci_u32_e32 v9, vcc_lo, 0, v9, vcc_lo
	s_or_b32 vcc_lo, s2, s1
	v_add_co_ci_u32_e32 v7, vcc_lo, 0, v7, vcc_lo
	v_cmp_gt_i32_e32 vcc_lo, 31, v8
	v_cndmask_b32_e32 v9, 0x7c00, v9, vcc_lo
	v_cmp_gt_i32_e32 vcc_lo, 31, v10
	v_cndmask_b32_e32 v7, 0x7c00, v7, vcc_lo
	v_cmp_eq_u32_e32 vcc_lo, 0x40f, v8
	v_cndmask_b32_e32 v2, v9, v2, vcc_lo
	v_cmp_eq_u32_e32 vcc_lo, 0x40f, v10
	v_and_or_b32 v2, 0x8000, v3, v2
	v_cndmask_b32_e32 v4, v7, v4, vcc_lo
	v_add_co_u32 v0, vcc_lo, v0, s4
	v_add_co_ci_u32_e32 v1, vcc_lo, s3, v1, vcc_lo
	v_and_or_b32 v3, 0x8000, v5, v4
	v_and_b32_e32 v2, 0xffff, v2
	v_lshl_or_b32 v2, v3, 16, v2
	global_store_dword v[0:1], v2, off
	global_load_dword v4, v43, s[8:9] offset:780
	v_add_nc_u32_e32 v2, 0x200, v6
	ds_read2_b32 v[2:3], v2 offset0:67 offset1:132
	s_waitcnt lgkmcnt(0)
	v_lshrrev_b32_e32 v5, 16, v2
	s_waitcnt vmcnt(0)
	v_mul_f16_sdwa v7, v5, v4 dst_sel:DWORD dst_unused:UNUSED_PAD src0_sel:DWORD src1_sel:WORD_1
	v_mul_f16_sdwa v8, v2, v4 dst_sel:DWORD dst_unused:UNUSED_PAD src0_sel:DWORD src1_sel:WORD_1
	v_fmac_f16_e32 v7, v2, v4
	v_fma_f16 v2, v4, v5, -v8
	v_cvt_f32_f16_e32 v4, v7
	v_cvt_f32_f16_e32 v2, v2
	v_cvt_f64_f32_e32 v[4:5], v4
	v_cvt_f64_f32_e32 v[7:8], v2
	v_mul_f64 v[4:5], v[4:5], s[12:13]
	v_mul_f64 v[7:8], v[7:8], s[12:13]
	v_and_or_b32 v2, 0x1ff, v5, v4
	v_and_or_b32 v7, 0x1ff, v8, v7
	v_lshrrev_b32_e32 v4, 8, v5
	v_bfe_u32 v9, v5, 20, 11
	v_lshrrev_b32_e32 v10, 8, v8
	v_cmp_ne_u32_e32 vcc_lo, 0, v2
	v_bfe_u32 v11, v8, 20, 11
	v_lshrrev_b32_e32 v5, 16, v5
	v_sub_nc_u32_e32 v12, 0x3f1, v9
	v_add_nc_u32_e32 v9, 0xfffffc10, v9
	v_cndmask_b32_e64 v2, 0, 1, vcc_lo
	v_cmp_ne_u32_e32 vcc_lo, 0, v7
	v_lshrrev_b32_e32 v8, 16, v8
	v_and_or_b32 v2, 0xffe, v4, v2
	v_cndmask_b32_e64 v7, 0, 1, vcc_lo
	v_sub_nc_u32_e32 v4, 0x3f1, v11
	v_add_nc_u32_e32 v11, 0xfffffc10, v11
	v_and_or_b32 v7, 0xffe, v10, v7
	v_med3_i32 v10, v12, 0, 13
	v_or_b32_e32 v12, 0x1000, v2
	v_med3_i32 v4, v4, 0, 13
	v_or_b32_e32 v13, 0x1000, v7
	v_lshrrev_b32_e32 v14, v10, v12
	v_lshrrev_b32_e32 v15, v4, v13
	v_lshlrev_b32_e32 v10, v10, v14
	v_lshlrev_b32_e32 v4, v4, v15
	v_cmp_ne_u32_e32 vcc_lo, v10, v12
	v_lshl_or_b32 v12, v9, 12, v2
	v_cndmask_b32_e64 v10, 0, 1, vcc_lo
	v_cmp_ne_u32_e32 vcc_lo, v4, v13
	v_lshl_or_b32 v13, v11, 12, v7
	v_or_b32_e32 v10, v14, v10
	v_cndmask_b32_e64 v4, 0, 1, vcc_lo
	v_cmp_gt_i32_e32 vcc_lo, 1, v9
	v_or_b32_e32 v4, v15, v4
	v_cndmask_b32_e32 v10, v12, v10, vcc_lo
	v_cmp_gt_i32_e32 vcc_lo, 1, v11
	v_and_b32_e32 v12, 7, v10
	v_cndmask_b32_e32 v4, v13, v4, vcc_lo
	v_cmp_ne_u32_e32 vcc_lo, 0, v2
	v_lshrrev_b32_e32 v10, 2, v10
	v_cmp_eq_u32_e64 s0, 3, v12
	v_and_b32_e32 v13, 7, v4
	v_cndmask_b32_e64 v2, 0, 1, vcc_lo
	v_cmp_ne_u32_e32 vcc_lo, 0, v7
	v_lshrrev_b32_e32 v4, 2, v4
	v_cmp_lt_i32_e64 s1, 5, v13
	v_cmp_eq_u32_e64 s2, 3, v13
	v_cndmask_b32_e64 v7, 0, 1, vcc_lo
	v_cmp_lt_i32_e32 vcc_lo, 5, v12
	v_lshl_or_b32 v2, v2, 9, 0x7c00
	v_lshl_or_b32 v7, v7, 9, 0x7c00
	s_or_b32 vcc_lo, s0, vcc_lo
	v_add_co_ci_u32_e32 v10, vcc_lo, 0, v10, vcc_lo
	s_or_b32 vcc_lo, s2, s1
	v_add_co_ci_u32_e32 v4, vcc_lo, 0, v4, vcc_lo
	v_cmp_gt_i32_e32 vcc_lo, 31, v9
	v_cndmask_b32_e32 v10, 0x7c00, v10, vcc_lo
	v_cmp_gt_i32_e32 vcc_lo, 31, v11
	v_cndmask_b32_e32 v4, 0x7c00, v4, vcc_lo
	v_cmp_eq_u32_e32 vcc_lo, 0x40f, v9
	v_cndmask_b32_e32 v2, v10, v2, vcc_lo
	v_cmp_eq_u32_e32 vcc_lo, 0x40f, v11
	v_and_or_b32 v2, 0x8000, v5, v2
	v_cndmask_b32_e32 v4, v4, v7, vcc_lo
	v_add_co_u32 v0, vcc_lo, v0, s4
	v_add_co_ci_u32_e32 v1, vcc_lo, s3, v1, vcc_lo
	v_and_or_b32 v4, 0x8000, v8, v4
	v_and_b32_e32 v2, 0xffff, v2
	v_lshl_or_b32 v2, v4, 16, v2
	v_lshrrev_b32_e32 v4, 16, v3
	global_store_dword v[0:1], v2, off
	global_load_dword v2, v43, s[8:9] offset:1040
	s_waitcnt vmcnt(0)
	v_mul_f16_sdwa v5, v4, v2 dst_sel:DWORD dst_unused:UNUSED_PAD src0_sel:DWORD src1_sel:WORD_1
	v_mul_f16_sdwa v7, v3, v2 dst_sel:DWORD dst_unused:UNUSED_PAD src0_sel:DWORD src1_sel:WORD_1
	v_fmac_f16_e32 v5, v3, v2
	v_fma_f16 v2, v2, v4, -v7
	v_cvt_f32_f16_e32 v3, v5
	v_cvt_f32_f16_e32 v4, v2
	v_cvt_f64_f32_e32 v[2:3], v3
	v_cvt_f64_f32_e32 v[4:5], v4
	v_mul_f64 v[2:3], v[2:3], s[12:13]
	v_mul_f64 v[4:5], v[4:5], s[12:13]
	v_and_or_b32 v2, 0x1ff, v3, v2
	v_and_or_b32 v4, 0x1ff, v5, v4
	v_lshrrev_b32_e32 v7, 8, v3
	v_bfe_u32 v8, v3, 20, 11
	v_lshrrev_b32_e32 v9, 8, v5
	v_cmp_ne_u32_e32 vcc_lo, 0, v2
	v_bfe_u32 v10, v5, 20, 11
	v_lshrrev_b32_e32 v3, 16, v3
	v_sub_nc_u32_e32 v11, 0x3f1, v8
	v_add_nc_u32_e32 v8, 0xfffffc10, v8
	v_cndmask_b32_e64 v2, 0, 1, vcc_lo
	v_cmp_ne_u32_e32 vcc_lo, 0, v4
	v_lshrrev_b32_e32 v5, 16, v5
	v_and_or_b32 v2, 0xffe, v7, v2
	v_cndmask_b32_e64 v4, 0, 1, vcc_lo
	v_sub_nc_u32_e32 v7, 0x3f1, v10
	v_add_nc_u32_e32 v10, 0xfffffc10, v10
	v_and_or_b32 v4, 0xffe, v9, v4
	v_med3_i32 v9, v11, 0, 13
	v_or_b32_e32 v11, 0x1000, v2
	v_med3_i32 v7, v7, 0, 13
	v_or_b32_e32 v12, 0x1000, v4
	v_lshrrev_b32_e32 v13, v9, v11
	v_lshrrev_b32_e32 v14, v7, v12
	v_lshlrev_b32_e32 v9, v9, v13
	v_lshlrev_b32_e32 v7, v7, v14
	v_cmp_ne_u32_e32 vcc_lo, v9, v11
	v_lshl_or_b32 v11, v8, 12, v2
	v_cndmask_b32_e64 v9, 0, 1, vcc_lo
	v_cmp_ne_u32_e32 vcc_lo, v7, v12
	v_lshl_or_b32 v12, v10, 12, v4
	v_or_b32_e32 v9, v13, v9
	v_cndmask_b32_e64 v7, 0, 1, vcc_lo
	v_cmp_gt_i32_e32 vcc_lo, 1, v8
	v_or_b32_e32 v7, v14, v7
	v_cndmask_b32_e32 v9, v11, v9, vcc_lo
	v_cmp_gt_i32_e32 vcc_lo, 1, v10
	v_and_b32_e32 v11, 7, v9
	v_cndmask_b32_e32 v7, v12, v7, vcc_lo
	v_cmp_ne_u32_e32 vcc_lo, 0, v2
	v_lshrrev_b32_e32 v9, 2, v9
	v_cmp_eq_u32_e64 s0, 3, v11
	v_and_b32_e32 v12, 7, v7
	v_cndmask_b32_e64 v2, 0, 1, vcc_lo
	v_cmp_ne_u32_e32 vcc_lo, 0, v4
	v_lshrrev_b32_e32 v7, 2, v7
	v_cmp_lt_i32_e64 s1, 5, v12
	v_cmp_eq_u32_e64 s2, 3, v12
	v_cndmask_b32_e64 v4, 0, 1, vcc_lo
	v_cmp_lt_i32_e32 vcc_lo, 5, v11
	v_lshl_or_b32 v2, v2, 9, 0x7c00
	v_lshl_or_b32 v4, v4, 9, 0x7c00
	s_or_b32 vcc_lo, s0, vcc_lo
	v_add_co_ci_u32_e32 v9, vcc_lo, 0, v9, vcc_lo
	s_or_b32 vcc_lo, s2, s1
	v_add_co_ci_u32_e32 v7, vcc_lo, 0, v7, vcc_lo
	v_cmp_gt_i32_e32 vcc_lo, 31, v8
	v_cndmask_b32_e32 v9, 0x7c00, v9, vcc_lo
	v_cmp_gt_i32_e32 vcc_lo, 31, v10
	v_cndmask_b32_e32 v7, 0x7c00, v7, vcc_lo
	v_cmp_eq_u32_e32 vcc_lo, 0x40f, v8
	v_cndmask_b32_e32 v2, v9, v2, vcc_lo
	v_cmp_eq_u32_e32 vcc_lo, 0x40f, v10
	v_and_or_b32 v2, 0x8000, v3, v2
	v_cndmask_b32_e32 v4, v7, v4, vcc_lo
	v_add_co_u32 v0, vcc_lo, v0, s4
	v_add_co_ci_u32_e32 v1, vcc_lo, s3, v1, vcc_lo
	v_and_or_b32 v3, 0x8000, v5, v4
	v_and_b32_e32 v2, 0xffff, v2
	v_lshl_or_b32 v2, v3, 16, v2
	global_store_dword v[0:1], v2, off
	global_load_dword v4, v43, s[8:9] offset:1300
	v_add_nc_u32_e32 v2, 0x400, v6
	ds_read2_b32 v[2:3], v2 offset0:69 offset1:134
	s_waitcnt lgkmcnt(0)
	v_lshrrev_b32_e32 v5, 16, v2
	s_waitcnt vmcnt(0)
	v_mul_f16_sdwa v7, v5, v4 dst_sel:DWORD dst_unused:UNUSED_PAD src0_sel:DWORD src1_sel:WORD_1
	v_mul_f16_sdwa v8, v2, v4 dst_sel:DWORD dst_unused:UNUSED_PAD src0_sel:DWORD src1_sel:WORD_1
	v_fmac_f16_e32 v7, v2, v4
	v_fma_f16 v2, v4, v5, -v8
	v_cvt_f32_f16_e32 v4, v7
	v_cvt_f32_f16_e32 v2, v2
	v_cvt_f64_f32_e32 v[4:5], v4
	v_cvt_f64_f32_e32 v[7:8], v2
	v_mul_f64 v[4:5], v[4:5], s[12:13]
	v_mul_f64 v[7:8], v[7:8], s[12:13]
	v_and_or_b32 v2, 0x1ff, v5, v4
	v_and_or_b32 v7, 0x1ff, v8, v7
	v_lshrrev_b32_e32 v4, 8, v5
	v_bfe_u32 v9, v5, 20, 11
	v_lshrrev_b32_e32 v10, 8, v8
	v_cmp_ne_u32_e32 vcc_lo, 0, v2
	v_bfe_u32 v11, v8, 20, 11
	v_lshrrev_b32_e32 v5, 16, v5
	v_sub_nc_u32_e32 v12, 0x3f1, v9
	v_add_nc_u32_e32 v9, 0xfffffc10, v9
	v_cndmask_b32_e64 v2, 0, 1, vcc_lo
	v_cmp_ne_u32_e32 vcc_lo, 0, v7
	v_lshrrev_b32_e32 v8, 16, v8
	v_and_or_b32 v2, 0xffe, v4, v2
	v_cndmask_b32_e64 v7, 0, 1, vcc_lo
	v_sub_nc_u32_e32 v4, 0x3f1, v11
	v_add_nc_u32_e32 v11, 0xfffffc10, v11
	v_and_or_b32 v7, 0xffe, v10, v7
	v_med3_i32 v10, v12, 0, 13
	v_or_b32_e32 v12, 0x1000, v2
	v_med3_i32 v4, v4, 0, 13
	v_or_b32_e32 v13, 0x1000, v7
	v_lshrrev_b32_e32 v14, v10, v12
	v_lshrrev_b32_e32 v15, v4, v13
	v_lshlrev_b32_e32 v10, v10, v14
	v_lshlrev_b32_e32 v4, v4, v15
	v_cmp_ne_u32_e32 vcc_lo, v10, v12
	v_lshl_or_b32 v12, v9, 12, v2
	v_cndmask_b32_e64 v10, 0, 1, vcc_lo
	v_cmp_ne_u32_e32 vcc_lo, v4, v13
	v_lshl_or_b32 v13, v11, 12, v7
	v_or_b32_e32 v10, v14, v10
	v_cndmask_b32_e64 v4, 0, 1, vcc_lo
	v_cmp_gt_i32_e32 vcc_lo, 1, v9
	v_or_b32_e32 v4, v15, v4
	v_cndmask_b32_e32 v10, v12, v10, vcc_lo
	v_cmp_gt_i32_e32 vcc_lo, 1, v11
	v_and_b32_e32 v12, 7, v10
	v_cndmask_b32_e32 v4, v13, v4, vcc_lo
	v_cmp_ne_u32_e32 vcc_lo, 0, v2
	v_lshrrev_b32_e32 v10, 2, v10
	v_cmp_eq_u32_e64 s0, 3, v12
	v_and_b32_e32 v13, 7, v4
	v_cndmask_b32_e64 v2, 0, 1, vcc_lo
	v_cmp_ne_u32_e32 vcc_lo, 0, v7
	v_lshrrev_b32_e32 v4, 2, v4
	v_cmp_lt_i32_e64 s1, 5, v13
	v_cmp_eq_u32_e64 s2, 3, v13
	v_cndmask_b32_e64 v7, 0, 1, vcc_lo
	v_cmp_lt_i32_e32 vcc_lo, 5, v12
	v_lshl_or_b32 v2, v2, 9, 0x7c00
	v_lshl_or_b32 v7, v7, 9, 0x7c00
	s_or_b32 vcc_lo, s0, vcc_lo
	v_add_co_ci_u32_e32 v10, vcc_lo, 0, v10, vcc_lo
	s_or_b32 vcc_lo, s2, s1
	v_add_co_ci_u32_e32 v4, vcc_lo, 0, v4, vcc_lo
	v_cmp_gt_i32_e32 vcc_lo, 31, v9
	v_cndmask_b32_e32 v10, 0x7c00, v10, vcc_lo
	v_cmp_gt_i32_e32 vcc_lo, 31, v11
	v_cndmask_b32_e32 v4, 0x7c00, v4, vcc_lo
	v_cmp_eq_u32_e32 vcc_lo, 0x40f, v9
	v_cndmask_b32_e32 v2, v10, v2, vcc_lo
	v_cmp_eq_u32_e32 vcc_lo, 0x40f, v11
	v_and_or_b32 v2, 0x8000, v5, v2
	v_cndmask_b32_e32 v4, v4, v7, vcc_lo
	v_add_co_u32 v0, vcc_lo, v0, s4
	v_add_co_ci_u32_e32 v1, vcc_lo, s3, v1, vcc_lo
	v_and_or_b32 v4, 0x8000, v8, v4
	v_and_b32_e32 v2, 0xffff, v2
	v_lshl_or_b32 v2, v4, 16, v2
	v_lshrrev_b32_e32 v4, 16, v3
	global_store_dword v[0:1], v2, off
	global_load_dword v2, v43, s[8:9] offset:1560
	s_waitcnt vmcnt(0)
	v_mul_f16_sdwa v5, v4, v2 dst_sel:DWORD dst_unused:UNUSED_PAD src0_sel:DWORD src1_sel:WORD_1
	v_mul_f16_sdwa v7, v3, v2 dst_sel:DWORD dst_unused:UNUSED_PAD src0_sel:DWORD src1_sel:WORD_1
	v_fmac_f16_e32 v5, v3, v2
	v_fma_f16 v2, v2, v4, -v7
	v_cvt_f32_f16_e32 v3, v5
	v_cvt_f32_f16_e32 v4, v2
	v_cvt_f64_f32_e32 v[2:3], v3
	v_cvt_f64_f32_e32 v[4:5], v4
	v_mul_f64 v[2:3], v[2:3], s[12:13]
	v_mul_f64 v[4:5], v[4:5], s[12:13]
	v_and_or_b32 v2, 0x1ff, v3, v2
	v_and_or_b32 v4, 0x1ff, v5, v4
	v_lshrrev_b32_e32 v7, 8, v3
	v_bfe_u32 v8, v3, 20, 11
	v_lshrrev_b32_e32 v9, 8, v5
	v_cmp_ne_u32_e32 vcc_lo, 0, v2
	v_bfe_u32 v10, v5, 20, 11
	v_lshrrev_b32_e32 v3, 16, v3
	v_sub_nc_u32_e32 v11, 0x3f1, v8
	v_add_nc_u32_e32 v8, 0xfffffc10, v8
	v_cndmask_b32_e64 v2, 0, 1, vcc_lo
	v_cmp_ne_u32_e32 vcc_lo, 0, v4
	v_lshrrev_b32_e32 v5, 16, v5
	v_and_or_b32 v2, 0xffe, v7, v2
	v_cndmask_b32_e64 v4, 0, 1, vcc_lo
	v_sub_nc_u32_e32 v7, 0x3f1, v10
	v_add_nc_u32_e32 v10, 0xfffffc10, v10
	v_and_or_b32 v4, 0xffe, v9, v4
	v_med3_i32 v9, v11, 0, 13
	v_or_b32_e32 v11, 0x1000, v2
	v_med3_i32 v7, v7, 0, 13
	v_or_b32_e32 v12, 0x1000, v4
	v_lshrrev_b32_e32 v13, v9, v11
	v_lshrrev_b32_e32 v14, v7, v12
	v_lshlrev_b32_e32 v9, v9, v13
	v_lshlrev_b32_e32 v7, v7, v14
	v_cmp_ne_u32_e32 vcc_lo, v9, v11
	v_lshl_or_b32 v11, v8, 12, v2
	v_cndmask_b32_e64 v9, 0, 1, vcc_lo
	v_cmp_ne_u32_e32 vcc_lo, v7, v12
	v_lshl_or_b32 v12, v10, 12, v4
	v_or_b32_e32 v9, v13, v9
	v_cndmask_b32_e64 v7, 0, 1, vcc_lo
	v_cmp_gt_i32_e32 vcc_lo, 1, v8
	v_or_b32_e32 v7, v14, v7
	v_cndmask_b32_e32 v9, v11, v9, vcc_lo
	v_cmp_gt_i32_e32 vcc_lo, 1, v10
	v_and_b32_e32 v11, 7, v9
	v_cndmask_b32_e32 v7, v12, v7, vcc_lo
	v_cmp_ne_u32_e32 vcc_lo, 0, v2
	v_lshrrev_b32_e32 v9, 2, v9
	v_cmp_eq_u32_e64 s0, 3, v11
	v_and_b32_e32 v12, 7, v7
	v_cndmask_b32_e64 v2, 0, 1, vcc_lo
	v_cmp_ne_u32_e32 vcc_lo, 0, v4
	v_lshrrev_b32_e32 v7, 2, v7
	v_cmp_lt_i32_e64 s1, 5, v12
	v_cmp_eq_u32_e64 s2, 3, v12
	v_cndmask_b32_e64 v4, 0, 1, vcc_lo
	v_cmp_lt_i32_e32 vcc_lo, 5, v11
	v_lshl_or_b32 v2, v2, 9, 0x7c00
	v_lshl_or_b32 v4, v4, 9, 0x7c00
	s_or_b32 vcc_lo, s0, vcc_lo
	v_add_co_ci_u32_e32 v9, vcc_lo, 0, v9, vcc_lo
	s_or_b32 vcc_lo, s2, s1
	v_add_co_ci_u32_e32 v7, vcc_lo, 0, v7, vcc_lo
	v_cmp_gt_i32_e32 vcc_lo, 31, v8
	v_cndmask_b32_e32 v9, 0x7c00, v9, vcc_lo
	v_cmp_gt_i32_e32 vcc_lo, 31, v10
	v_cndmask_b32_e32 v7, 0x7c00, v7, vcc_lo
	v_cmp_eq_u32_e32 vcc_lo, 0x40f, v8
	v_cndmask_b32_e32 v2, v9, v2, vcc_lo
	v_cmp_eq_u32_e32 vcc_lo, 0x40f, v10
	v_and_or_b32 v2, 0x8000, v3, v2
	v_cndmask_b32_e32 v4, v7, v4, vcc_lo
	v_add_co_u32 v0, vcc_lo, v0, s4
	v_add_co_ci_u32_e32 v1, vcc_lo, s3, v1, vcc_lo
	v_and_or_b32 v3, 0x8000, v5, v4
	v_and_b32_e32 v2, 0xffff, v2
	v_lshl_or_b32 v2, v3, 16, v2
	v_add_nc_u32_e32 v3, 0x600, v6
	global_store_dword v[0:1], v2, off
	global_load_dword v2, v43, s[8:9] offset:1820
	ds_read2_b32 v[3:4], v3 offset0:71 offset1:136
	s_waitcnt lgkmcnt(0)
	v_lshrrev_b32_e32 v5, 16, v3
	s_waitcnt vmcnt(0)
	v_mul_f16_sdwa v7, v5, v2 dst_sel:DWORD dst_unused:UNUSED_PAD src0_sel:DWORD src1_sel:WORD_1
	v_mul_f16_sdwa v8, v3, v2 dst_sel:DWORD dst_unused:UNUSED_PAD src0_sel:DWORD src1_sel:WORD_1
	v_fmac_f16_e32 v7, v3, v2
	v_fma_f16 v2, v2, v5, -v8
	v_cvt_f32_f16_e32 v3, v7
	v_cvt_f32_f16_e32 v5, v2
	v_cvt_f64_f32_e32 v[2:3], v3
	v_cvt_f64_f32_e32 v[7:8], v5
	v_mul_f64 v[2:3], v[2:3], s[12:13]
	v_mul_f64 v[7:8], v[7:8], s[12:13]
	v_and_or_b32 v2, 0x1ff, v3, v2
	v_and_or_b32 v7, 0x1ff, v8, v7
	v_lshrrev_b32_e32 v5, 8, v3
	v_bfe_u32 v9, v3, 20, 11
	v_lshrrev_b32_e32 v10, 8, v8
	v_cmp_ne_u32_e32 vcc_lo, 0, v2
	v_bfe_u32 v11, v8, 20, 11
	v_lshrrev_b32_e32 v3, 16, v3
	v_sub_nc_u32_e32 v12, 0x3f1, v9
	v_add_nc_u32_e32 v9, 0xfffffc10, v9
	v_cndmask_b32_e64 v2, 0, 1, vcc_lo
	v_cmp_ne_u32_e32 vcc_lo, 0, v7
	v_lshrrev_b32_e32 v8, 16, v8
	v_and_or_b32 v2, 0xffe, v5, v2
	v_cndmask_b32_e64 v7, 0, 1, vcc_lo
	v_sub_nc_u32_e32 v5, 0x3f1, v11
	v_add_nc_u32_e32 v11, 0xfffffc10, v11
	v_and_or_b32 v7, 0xffe, v10, v7
	v_med3_i32 v10, v12, 0, 13
	v_or_b32_e32 v12, 0x1000, v2
	v_med3_i32 v5, v5, 0, 13
	v_or_b32_e32 v13, 0x1000, v7
	v_lshrrev_b32_e32 v14, v10, v12
	v_lshrrev_b32_e32 v15, v5, v13
	v_lshlrev_b32_e32 v10, v10, v14
	v_lshlrev_b32_e32 v5, v5, v15
	v_cmp_ne_u32_e32 vcc_lo, v10, v12
	v_lshl_or_b32 v12, v9, 12, v2
	v_cndmask_b32_e64 v10, 0, 1, vcc_lo
	v_cmp_ne_u32_e32 vcc_lo, v5, v13
	v_lshl_or_b32 v13, v11, 12, v7
	v_or_b32_e32 v10, v14, v10
	v_cndmask_b32_e64 v5, 0, 1, vcc_lo
	v_cmp_gt_i32_e32 vcc_lo, 1, v9
	v_or_b32_e32 v5, v15, v5
	v_cndmask_b32_e32 v10, v12, v10, vcc_lo
	v_cmp_gt_i32_e32 vcc_lo, 1, v11
	v_and_b32_e32 v12, 7, v10
	v_cndmask_b32_e32 v5, v13, v5, vcc_lo
	v_cmp_ne_u32_e32 vcc_lo, 0, v2
	v_lshrrev_b32_e32 v10, 2, v10
	v_cmp_eq_u32_e64 s0, 3, v12
	v_and_b32_e32 v13, 7, v5
	v_cndmask_b32_e64 v2, 0, 1, vcc_lo
	v_cmp_ne_u32_e32 vcc_lo, 0, v7
	v_lshrrev_b32_e32 v5, 2, v5
	v_cmp_lt_i32_e64 s1, 5, v13
	v_cmp_eq_u32_e64 s2, 3, v13
	v_cndmask_b32_e64 v7, 0, 1, vcc_lo
	v_cmp_lt_i32_e32 vcc_lo, 5, v12
	v_lshl_or_b32 v2, v2, 9, 0x7c00
	v_lshl_or_b32 v7, v7, 9, 0x7c00
	s_or_b32 vcc_lo, s0, vcc_lo
	v_add_co_ci_u32_e32 v10, vcc_lo, 0, v10, vcc_lo
	s_or_b32 vcc_lo, s2, s1
	v_add_co_ci_u32_e32 v5, vcc_lo, 0, v5, vcc_lo
	v_cmp_gt_i32_e32 vcc_lo, 31, v9
	v_cndmask_b32_e32 v10, 0x7c00, v10, vcc_lo
	v_cmp_gt_i32_e32 vcc_lo, 31, v11
	v_cndmask_b32_e32 v5, 0x7c00, v5, vcc_lo
	v_cmp_eq_u32_e32 vcc_lo, 0x40f, v9
	v_cndmask_b32_e32 v2, v10, v2, vcc_lo
	v_cmp_eq_u32_e32 vcc_lo, 0x40f, v11
	v_cndmask_b32_e32 v5, v5, v7, vcc_lo
	v_and_or_b32 v7, 0x8000, v3, v2
	v_add_co_u32 v2, s0, s8, v43
	v_add_co_ci_u32_e64 v3, null, s9, 0, s0
	v_and_or_b32 v5, 0x8000, v8, v5
	v_and_b32_e32 v9, 0xffff, v7
	v_add_co_u32 v7, vcc_lo, v0, s4
	v_add_co_ci_u32_e32 v8, vcc_lo, s3, v1, vcc_lo
	v_add_co_u32 v0, vcc_lo, 0x800, v2
	v_lshl_or_b32 v5, v5, 16, v9
	v_add_co_ci_u32_e32 v1, vcc_lo, 0, v3, vcc_lo
	v_lshrrev_b32_e32 v9, 16, v4
	global_store_dword v[7:8], v5, off
	global_load_dword v5, v[0:1], off offset:32
	s_waitcnt vmcnt(0)
	v_mul_f16_sdwa v10, v9, v5 dst_sel:DWORD dst_unused:UNUSED_PAD src0_sel:DWORD src1_sel:WORD_1
	v_mul_f16_sdwa v11, v4, v5 dst_sel:DWORD dst_unused:UNUSED_PAD src0_sel:DWORD src1_sel:WORD_1
	v_fmac_f16_e32 v10, v4, v5
	v_fma_f16 v4, v5, v9, -v11
	v_cvt_f32_f16_e32 v5, v10
	v_cvt_f32_f16_e32 v9, v4
	v_cvt_f64_f32_e32 v[4:5], v5
	v_cvt_f64_f32_e32 v[9:10], v9
	v_mul_f64 v[4:5], v[4:5], s[12:13]
	v_mul_f64 v[9:10], v[9:10], s[12:13]
	v_and_or_b32 v4, 0x1ff, v5, v4
	v_and_or_b32 v9, 0x1ff, v10, v9
	v_lshrrev_b32_e32 v11, 8, v5
	v_bfe_u32 v12, v5, 20, 11
	v_lshrrev_b32_e32 v13, 8, v10
	v_cmp_ne_u32_e32 vcc_lo, 0, v4
	v_bfe_u32 v14, v10, 20, 11
	v_lshrrev_b32_e32 v5, 16, v5
	v_sub_nc_u32_e32 v15, 0x3f1, v12
	v_add_nc_u32_e32 v12, 0xfffffc10, v12
	v_cndmask_b32_e64 v4, 0, 1, vcc_lo
	v_cmp_ne_u32_e32 vcc_lo, 0, v9
	v_lshrrev_b32_e32 v10, 16, v10
	v_and_or_b32 v4, 0xffe, v11, v4
	v_cndmask_b32_e64 v9, 0, 1, vcc_lo
	v_sub_nc_u32_e32 v11, 0x3f1, v14
	v_add_nc_u32_e32 v14, 0xfffffc10, v14
	v_and_or_b32 v9, 0xffe, v13, v9
	v_med3_i32 v13, v15, 0, 13
	v_or_b32_e32 v15, 0x1000, v4
	v_med3_i32 v11, v11, 0, 13
	v_or_b32_e32 v16, 0x1000, v9
	v_lshrrev_b32_e32 v17, v13, v15
	v_lshrrev_b32_e32 v18, v11, v16
	v_lshlrev_b32_e32 v13, v13, v17
	v_lshlrev_b32_e32 v11, v11, v18
	v_cmp_ne_u32_e32 vcc_lo, v13, v15
	v_lshl_or_b32 v15, v12, 12, v4
	v_cndmask_b32_e64 v13, 0, 1, vcc_lo
	v_cmp_ne_u32_e32 vcc_lo, v11, v16
	v_lshl_or_b32 v16, v14, 12, v9
	v_or_b32_e32 v13, v17, v13
	v_cndmask_b32_e64 v11, 0, 1, vcc_lo
	v_cmp_gt_i32_e32 vcc_lo, 1, v12
	v_or_b32_e32 v11, v18, v11
	v_cndmask_b32_e32 v13, v15, v13, vcc_lo
	v_cmp_gt_i32_e32 vcc_lo, 1, v14
	v_and_b32_e32 v15, 7, v13
	v_cndmask_b32_e32 v11, v16, v11, vcc_lo
	v_cmp_ne_u32_e32 vcc_lo, 0, v4
	v_lshrrev_b32_e32 v13, 2, v13
	v_cmp_eq_u32_e64 s0, 3, v15
	v_and_b32_e32 v16, 7, v11
	v_cndmask_b32_e64 v4, 0, 1, vcc_lo
	v_cmp_ne_u32_e32 vcc_lo, 0, v9
	v_lshrrev_b32_e32 v11, 2, v11
	v_cmp_lt_i32_e64 s1, 5, v16
	v_cmp_eq_u32_e64 s2, 3, v16
	v_cndmask_b32_e64 v9, 0, 1, vcc_lo
	v_cmp_lt_i32_e32 vcc_lo, 5, v15
	v_lshl_or_b32 v4, v4, 9, 0x7c00
	v_lshl_or_b32 v9, v9, 9, 0x7c00
	s_or_b32 vcc_lo, s0, vcc_lo
	v_add_co_ci_u32_e32 v13, vcc_lo, 0, v13, vcc_lo
	s_or_b32 vcc_lo, s2, s1
	v_add_co_ci_u32_e32 v11, vcc_lo, 0, v11, vcc_lo
	v_cmp_gt_i32_e32 vcc_lo, 31, v12
	v_cndmask_b32_e32 v13, 0x7c00, v13, vcc_lo
	v_cmp_gt_i32_e32 vcc_lo, 31, v14
	v_cndmask_b32_e32 v11, 0x7c00, v11, vcc_lo
	v_cmp_eq_u32_e32 vcc_lo, 0x40f, v12
	v_cndmask_b32_e32 v4, v13, v4, vcc_lo
	v_cmp_eq_u32_e32 vcc_lo, 0x40f, v14
	v_and_or_b32 v4, 0x8000, v5, v4
	v_cndmask_b32_e32 v9, v11, v9, vcc_lo
	v_and_or_b32 v9, 0x8000, v10, v9
	v_and_b32_e32 v10, 0xffff, v4
	v_add_co_u32 v4, vcc_lo, v7, s4
	v_add_co_ci_u32_e32 v5, vcc_lo, s3, v8, vcc_lo
	v_lshl_or_b32 v7, v9, 16, v10
	global_store_dword v[4:5], v7, off
	global_load_dword v9, v[0:1], off offset:292
	v_add_nc_u32_e32 v7, 0x800, v6
	ds_read2_b32 v[7:8], v7 offset0:73 offset1:138
	s_waitcnt lgkmcnt(0)
	v_lshrrev_b32_e32 v10, 16, v7
	s_waitcnt vmcnt(0)
	v_mul_f16_sdwa v11, v10, v9 dst_sel:DWORD dst_unused:UNUSED_PAD src0_sel:DWORD src1_sel:WORD_1
	v_mul_f16_sdwa v12, v7, v9 dst_sel:DWORD dst_unused:UNUSED_PAD src0_sel:DWORD src1_sel:WORD_1
	v_fmac_f16_e32 v11, v7, v9
	v_fma_f16 v7, v9, v10, -v12
	v_cvt_f32_f16_e32 v9, v11
	v_cvt_f32_f16_e32 v7, v7
	v_cvt_f64_f32_e32 v[9:10], v9
	v_cvt_f64_f32_e32 v[11:12], v7
	v_mul_f64 v[9:10], v[9:10], s[12:13]
	v_mul_f64 v[11:12], v[11:12], s[12:13]
	v_and_or_b32 v7, 0x1ff, v10, v9
	v_and_or_b32 v11, 0x1ff, v12, v11
	v_lshrrev_b32_e32 v9, 8, v10
	v_bfe_u32 v13, v10, 20, 11
	v_lshrrev_b32_e32 v14, 8, v12
	v_cmp_ne_u32_e32 vcc_lo, 0, v7
	v_bfe_u32 v15, v12, 20, 11
	v_lshrrev_b32_e32 v10, 16, v10
	v_sub_nc_u32_e32 v16, 0x3f1, v13
	v_add_nc_u32_e32 v13, 0xfffffc10, v13
	v_cndmask_b32_e64 v7, 0, 1, vcc_lo
	v_cmp_ne_u32_e32 vcc_lo, 0, v11
	v_lshrrev_b32_e32 v12, 16, v12
	v_and_or_b32 v7, 0xffe, v9, v7
	v_cndmask_b32_e64 v11, 0, 1, vcc_lo
	v_sub_nc_u32_e32 v9, 0x3f1, v15
	v_add_nc_u32_e32 v15, 0xfffffc10, v15
	v_and_or_b32 v11, 0xffe, v14, v11
	v_med3_i32 v14, v16, 0, 13
	v_or_b32_e32 v16, 0x1000, v7
	v_med3_i32 v9, v9, 0, 13
	v_or_b32_e32 v17, 0x1000, v11
	v_lshrrev_b32_e32 v18, v14, v16
	v_lshrrev_b32_e32 v19, v9, v17
	v_lshlrev_b32_e32 v14, v14, v18
	v_lshlrev_b32_e32 v9, v9, v19
	v_cmp_ne_u32_e32 vcc_lo, v14, v16
	v_lshl_or_b32 v16, v13, 12, v7
	v_cndmask_b32_e64 v14, 0, 1, vcc_lo
	v_cmp_ne_u32_e32 vcc_lo, v9, v17
	v_lshl_or_b32 v17, v15, 12, v11
	v_or_b32_e32 v14, v18, v14
	v_cndmask_b32_e64 v9, 0, 1, vcc_lo
	v_cmp_gt_i32_e32 vcc_lo, 1, v13
	v_or_b32_e32 v9, v19, v9
	v_cndmask_b32_e32 v14, v16, v14, vcc_lo
	v_cmp_gt_i32_e32 vcc_lo, 1, v15
	v_and_b32_e32 v16, 7, v14
	v_cndmask_b32_e32 v9, v17, v9, vcc_lo
	v_cmp_ne_u32_e32 vcc_lo, 0, v7
	v_lshrrev_b32_e32 v14, 2, v14
	v_cmp_eq_u32_e64 s0, 3, v16
	v_and_b32_e32 v17, 7, v9
	v_cndmask_b32_e64 v7, 0, 1, vcc_lo
	v_cmp_ne_u32_e32 vcc_lo, 0, v11
	v_lshrrev_b32_e32 v9, 2, v9
	v_cmp_lt_i32_e64 s1, 5, v17
	v_cmp_eq_u32_e64 s2, 3, v17
	v_cndmask_b32_e64 v11, 0, 1, vcc_lo
	v_cmp_lt_i32_e32 vcc_lo, 5, v16
	v_lshl_or_b32 v7, v7, 9, 0x7c00
	v_lshl_or_b32 v11, v11, 9, 0x7c00
	s_or_b32 vcc_lo, s0, vcc_lo
	v_add_co_ci_u32_e32 v14, vcc_lo, 0, v14, vcc_lo
	s_or_b32 vcc_lo, s2, s1
	v_add_co_ci_u32_e32 v9, vcc_lo, 0, v9, vcc_lo
	v_cmp_gt_i32_e32 vcc_lo, 31, v13
	v_cndmask_b32_e32 v14, 0x7c00, v14, vcc_lo
	v_cmp_gt_i32_e32 vcc_lo, 31, v15
	v_cndmask_b32_e32 v9, 0x7c00, v9, vcc_lo
	v_cmp_eq_u32_e32 vcc_lo, 0x40f, v13
	v_cndmask_b32_e32 v7, v14, v7, vcc_lo
	v_cmp_eq_u32_e32 vcc_lo, 0x40f, v15
	v_and_or_b32 v7, 0x8000, v10, v7
	v_cndmask_b32_e32 v9, v9, v11, vcc_lo
	v_add_co_u32 v4, vcc_lo, v4, s4
	v_add_co_ci_u32_e32 v5, vcc_lo, s3, v5, vcc_lo
	v_and_or_b32 v9, 0x8000, v12, v9
	v_and_b32_e32 v7, 0xffff, v7
	v_lshl_or_b32 v7, v9, 16, v7
	v_lshrrev_b32_e32 v9, 16, v8
	global_store_dword v[4:5], v7, off
	global_load_dword v7, v[0:1], off offset:552
	s_waitcnt vmcnt(0)
	v_mul_f16_sdwa v10, v9, v7 dst_sel:DWORD dst_unused:UNUSED_PAD src0_sel:DWORD src1_sel:WORD_1
	v_mul_f16_sdwa v11, v8, v7 dst_sel:DWORD dst_unused:UNUSED_PAD src0_sel:DWORD src1_sel:WORD_1
	v_fmac_f16_e32 v10, v8, v7
	v_fma_f16 v7, v7, v9, -v11
	v_cvt_f32_f16_e32 v8, v10
	v_cvt_f32_f16_e32 v9, v7
	v_cvt_f64_f32_e32 v[7:8], v8
	v_cvt_f64_f32_e32 v[9:10], v9
	v_mul_f64 v[7:8], v[7:8], s[12:13]
	v_mul_f64 v[9:10], v[9:10], s[12:13]
	v_and_or_b32 v7, 0x1ff, v8, v7
	v_and_or_b32 v9, 0x1ff, v10, v9
	v_lshrrev_b32_e32 v11, 8, v8
	v_bfe_u32 v12, v8, 20, 11
	v_lshrrev_b32_e32 v13, 8, v10
	v_cmp_ne_u32_e32 vcc_lo, 0, v7
	v_bfe_u32 v14, v10, 20, 11
	v_lshrrev_b32_e32 v8, 16, v8
	v_sub_nc_u32_e32 v15, 0x3f1, v12
	v_add_nc_u32_e32 v12, 0xfffffc10, v12
	v_cndmask_b32_e64 v7, 0, 1, vcc_lo
	v_cmp_ne_u32_e32 vcc_lo, 0, v9
	v_lshrrev_b32_e32 v10, 16, v10
	v_and_or_b32 v7, 0xffe, v11, v7
	v_cndmask_b32_e64 v9, 0, 1, vcc_lo
	v_sub_nc_u32_e32 v11, 0x3f1, v14
	v_add_nc_u32_e32 v14, 0xfffffc10, v14
	v_and_or_b32 v9, 0xffe, v13, v9
	v_med3_i32 v13, v15, 0, 13
	v_or_b32_e32 v15, 0x1000, v7
	v_med3_i32 v11, v11, 0, 13
	v_or_b32_e32 v16, 0x1000, v9
	v_lshrrev_b32_e32 v17, v13, v15
	v_lshrrev_b32_e32 v18, v11, v16
	v_lshlrev_b32_e32 v13, v13, v17
	v_lshlrev_b32_e32 v11, v11, v18
	v_cmp_ne_u32_e32 vcc_lo, v13, v15
	v_lshl_or_b32 v15, v12, 12, v7
	v_cndmask_b32_e64 v13, 0, 1, vcc_lo
	v_cmp_ne_u32_e32 vcc_lo, v11, v16
	v_lshl_or_b32 v16, v14, 12, v9
	v_or_b32_e32 v13, v17, v13
	v_cndmask_b32_e64 v11, 0, 1, vcc_lo
	v_cmp_gt_i32_e32 vcc_lo, 1, v12
	v_or_b32_e32 v11, v18, v11
	v_cndmask_b32_e32 v13, v15, v13, vcc_lo
	v_cmp_gt_i32_e32 vcc_lo, 1, v14
	v_and_b32_e32 v15, 7, v13
	v_cndmask_b32_e32 v11, v16, v11, vcc_lo
	v_cmp_ne_u32_e32 vcc_lo, 0, v7
	v_lshrrev_b32_e32 v13, 2, v13
	v_cmp_eq_u32_e64 s0, 3, v15
	v_and_b32_e32 v16, 7, v11
	v_cndmask_b32_e64 v7, 0, 1, vcc_lo
	v_cmp_ne_u32_e32 vcc_lo, 0, v9
	v_lshrrev_b32_e32 v11, 2, v11
	v_cmp_lt_i32_e64 s1, 5, v16
	v_cmp_eq_u32_e64 s2, 3, v16
	v_cndmask_b32_e64 v9, 0, 1, vcc_lo
	v_cmp_lt_i32_e32 vcc_lo, 5, v15
	v_lshl_or_b32 v7, v7, 9, 0x7c00
	v_lshl_or_b32 v9, v9, 9, 0x7c00
	s_or_b32 vcc_lo, s0, vcc_lo
	v_add_co_ci_u32_e32 v13, vcc_lo, 0, v13, vcc_lo
	s_or_b32 vcc_lo, s2, s1
	v_add_co_ci_u32_e32 v11, vcc_lo, 0, v11, vcc_lo
	v_cmp_gt_i32_e32 vcc_lo, 31, v12
	v_cndmask_b32_e32 v13, 0x7c00, v13, vcc_lo
	v_cmp_gt_i32_e32 vcc_lo, 31, v14
	v_cndmask_b32_e32 v11, 0x7c00, v11, vcc_lo
	v_cmp_eq_u32_e32 vcc_lo, 0x40f, v12
	v_cndmask_b32_e32 v7, v13, v7, vcc_lo
	v_cmp_eq_u32_e32 vcc_lo, 0x40f, v14
	v_and_or_b32 v7, 0x8000, v8, v7
	v_cndmask_b32_e32 v9, v11, v9, vcc_lo
	v_add_co_u32 v4, vcc_lo, v4, s4
	v_add_co_ci_u32_e32 v5, vcc_lo, s3, v5, vcc_lo
	v_and_or_b32 v8, 0x8000, v10, v9
	v_and_b32_e32 v7, 0xffff, v7
	v_lshl_or_b32 v7, v8, 16, v7
	global_store_dword v[4:5], v7, off
	global_load_dword v9, v[0:1], off offset:812
	v_add_nc_u32_e32 v7, 0xa00, v6
	ds_read2_b32 v[7:8], v7 offset0:75 offset1:140
	s_waitcnt lgkmcnt(0)
	v_lshrrev_b32_e32 v10, 16, v7
	s_waitcnt vmcnt(0)
	v_mul_f16_sdwa v11, v10, v9 dst_sel:DWORD dst_unused:UNUSED_PAD src0_sel:DWORD src1_sel:WORD_1
	v_mul_f16_sdwa v12, v7, v9 dst_sel:DWORD dst_unused:UNUSED_PAD src0_sel:DWORD src1_sel:WORD_1
	v_fmac_f16_e32 v11, v7, v9
	v_fma_f16 v7, v9, v10, -v12
	v_cvt_f32_f16_e32 v9, v11
	v_cvt_f32_f16_e32 v7, v7
	v_cvt_f64_f32_e32 v[9:10], v9
	v_cvt_f64_f32_e32 v[11:12], v7
	v_mul_f64 v[9:10], v[9:10], s[12:13]
	v_mul_f64 v[11:12], v[11:12], s[12:13]
	v_and_or_b32 v7, 0x1ff, v10, v9
	v_and_or_b32 v11, 0x1ff, v12, v11
	v_lshrrev_b32_e32 v9, 8, v10
	v_bfe_u32 v13, v10, 20, 11
	v_lshrrev_b32_e32 v14, 8, v12
	v_cmp_ne_u32_e32 vcc_lo, 0, v7
	v_bfe_u32 v15, v12, 20, 11
	v_lshrrev_b32_e32 v10, 16, v10
	v_sub_nc_u32_e32 v16, 0x3f1, v13
	v_add_nc_u32_e32 v13, 0xfffffc10, v13
	v_cndmask_b32_e64 v7, 0, 1, vcc_lo
	v_cmp_ne_u32_e32 vcc_lo, 0, v11
	v_lshrrev_b32_e32 v12, 16, v12
	v_and_or_b32 v7, 0xffe, v9, v7
	v_cndmask_b32_e64 v11, 0, 1, vcc_lo
	v_sub_nc_u32_e32 v9, 0x3f1, v15
	v_add_nc_u32_e32 v15, 0xfffffc10, v15
	v_and_or_b32 v11, 0xffe, v14, v11
	v_med3_i32 v14, v16, 0, 13
	v_or_b32_e32 v16, 0x1000, v7
	v_med3_i32 v9, v9, 0, 13
	v_or_b32_e32 v17, 0x1000, v11
	v_lshrrev_b32_e32 v18, v14, v16
	v_lshrrev_b32_e32 v19, v9, v17
	v_lshlrev_b32_e32 v14, v14, v18
	v_lshlrev_b32_e32 v9, v9, v19
	v_cmp_ne_u32_e32 vcc_lo, v14, v16
	v_lshl_or_b32 v16, v13, 12, v7
	v_cndmask_b32_e64 v14, 0, 1, vcc_lo
	v_cmp_ne_u32_e32 vcc_lo, v9, v17
	v_lshl_or_b32 v17, v15, 12, v11
	v_or_b32_e32 v14, v18, v14
	v_cndmask_b32_e64 v9, 0, 1, vcc_lo
	v_cmp_gt_i32_e32 vcc_lo, 1, v13
	v_or_b32_e32 v9, v19, v9
	v_cndmask_b32_e32 v14, v16, v14, vcc_lo
	v_cmp_gt_i32_e32 vcc_lo, 1, v15
	v_and_b32_e32 v16, 7, v14
	v_cndmask_b32_e32 v9, v17, v9, vcc_lo
	v_cmp_ne_u32_e32 vcc_lo, 0, v7
	v_lshrrev_b32_e32 v14, 2, v14
	v_cmp_eq_u32_e64 s0, 3, v16
	v_and_b32_e32 v17, 7, v9
	v_cndmask_b32_e64 v7, 0, 1, vcc_lo
	v_cmp_ne_u32_e32 vcc_lo, 0, v11
	v_lshrrev_b32_e32 v9, 2, v9
	v_cmp_lt_i32_e64 s1, 5, v17
	v_cmp_eq_u32_e64 s2, 3, v17
	v_cndmask_b32_e64 v11, 0, 1, vcc_lo
	v_cmp_lt_i32_e32 vcc_lo, 5, v16
	v_lshl_or_b32 v7, v7, 9, 0x7c00
	v_lshl_or_b32 v11, v11, 9, 0x7c00
	s_or_b32 vcc_lo, s0, vcc_lo
	v_add_co_ci_u32_e32 v14, vcc_lo, 0, v14, vcc_lo
	s_or_b32 vcc_lo, s2, s1
	v_add_co_ci_u32_e32 v9, vcc_lo, 0, v9, vcc_lo
	v_cmp_gt_i32_e32 vcc_lo, 31, v13
	v_cndmask_b32_e32 v14, 0x7c00, v14, vcc_lo
	v_cmp_gt_i32_e32 vcc_lo, 31, v15
	v_cndmask_b32_e32 v9, 0x7c00, v9, vcc_lo
	v_cmp_eq_u32_e32 vcc_lo, 0x40f, v13
	v_cndmask_b32_e32 v7, v14, v7, vcc_lo
	v_cmp_eq_u32_e32 vcc_lo, 0x40f, v15
	v_and_or_b32 v7, 0x8000, v10, v7
	v_cndmask_b32_e32 v9, v9, v11, vcc_lo
	v_add_co_u32 v4, vcc_lo, v4, s4
	v_add_co_ci_u32_e32 v5, vcc_lo, s3, v5, vcc_lo
	v_and_or_b32 v9, 0x8000, v12, v9
	v_and_b32_e32 v7, 0xffff, v7
	v_lshl_or_b32 v7, v9, 16, v7
	v_lshrrev_b32_e32 v9, 16, v8
	global_store_dword v[4:5], v7, off
	global_load_dword v7, v[0:1], off offset:1072
	s_waitcnt vmcnt(0)
	v_mul_f16_sdwa v10, v9, v7 dst_sel:DWORD dst_unused:UNUSED_PAD src0_sel:DWORD src1_sel:WORD_1
	v_mul_f16_sdwa v11, v8, v7 dst_sel:DWORD dst_unused:UNUSED_PAD src0_sel:DWORD src1_sel:WORD_1
	v_fmac_f16_e32 v10, v8, v7
	v_fma_f16 v7, v7, v9, -v11
	v_cvt_f32_f16_e32 v8, v10
	v_cvt_f32_f16_e32 v9, v7
	v_cvt_f64_f32_e32 v[7:8], v8
	v_cvt_f64_f32_e32 v[9:10], v9
	v_mul_f64 v[7:8], v[7:8], s[12:13]
	v_mul_f64 v[9:10], v[9:10], s[12:13]
	v_and_or_b32 v7, 0x1ff, v8, v7
	v_and_or_b32 v9, 0x1ff, v10, v9
	v_lshrrev_b32_e32 v11, 8, v8
	v_bfe_u32 v12, v8, 20, 11
	v_lshrrev_b32_e32 v13, 8, v10
	v_cmp_ne_u32_e32 vcc_lo, 0, v7
	v_bfe_u32 v14, v10, 20, 11
	v_lshrrev_b32_e32 v8, 16, v8
	v_sub_nc_u32_e32 v15, 0x3f1, v12
	v_add_nc_u32_e32 v12, 0xfffffc10, v12
	v_cndmask_b32_e64 v7, 0, 1, vcc_lo
	v_cmp_ne_u32_e32 vcc_lo, 0, v9
	v_lshrrev_b32_e32 v10, 16, v10
	v_and_or_b32 v7, 0xffe, v11, v7
	v_cndmask_b32_e64 v9, 0, 1, vcc_lo
	v_sub_nc_u32_e32 v11, 0x3f1, v14
	v_add_nc_u32_e32 v14, 0xfffffc10, v14
	v_and_or_b32 v9, 0xffe, v13, v9
	v_med3_i32 v13, v15, 0, 13
	v_or_b32_e32 v15, 0x1000, v7
	v_med3_i32 v11, v11, 0, 13
	v_or_b32_e32 v16, 0x1000, v9
	v_lshrrev_b32_e32 v17, v13, v15
	v_lshrrev_b32_e32 v18, v11, v16
	v_lshlrev_b32_e32 v13, v13, v17
	v_lshlrev_b32_e32 v11, v11, v18
	v_cmp_ne_u32_e32 vcc_lo, v13, v15
	v_lshl_or_b32 v15, v12, 12, v7
	v_cndmask_b32_e64 v13, 0, 1, vcc_lo
	v_cmp_ne_u32_e32 vcc_lo, v11, v16
	v_lshl_or_b32 v16, v14, 12, v9
	v_or_b32_e32 v13, v17, v13
	v_cndmask_b32_e64 v11, 0, 1, vcc_lo
	v_cmp_gt_i32_e32 vcc_lo, 1, v12
	v_or_b32_e32 v11, v18, v11
	v_cndmask_b32_e32 v13, v15, v13, vcc_lo
	v_cmp_gt_i32_e32 vcc_lo, 1, v14
	v_and_b32_e32 v15, 7, v13
	v_cndmask_b32_e32 v11, v16, v11, vcc_lo
	v_cmp_ne_u32_e32 vcc_lo, 0, v7
	v_lshrrev_b32_e32 v13, 2, v13
	v_cmp_eq_u32_e64 s0, 3, v15
	v_and_b32_e32 v16, 7, v11
	v_cndmask_b32_e64 v7, 0, 1, vcc_lo
	v_cmp_ne_u32_e32 vcc_lo, 0, v9
	v_lshrrev_b32_e32 v11, 2, v11
	v_cmp_lt_i32_e64 s1, 5, v16
	v_cmp_eq_u32_e64 s2, 3, v16
	v_cndmask_b32_e64 v9, 0, 1, vcc_lo
	v_cmp_lt_i32_e32 vcc_lo, 5, v15
	v_lshl_or_b32 v7, v7, 9, 0x7c00
	v_lshl_or_b32 v9, v9, 9, 0x7c00
	s_or_b32 vcc_lo, s0, vcc_lo
	v_add_co_ci_u32_e32 v13, vcc_lo, 0, v13, vcc_lo
	s_or_b32 vcc_lo, s2, s1
	v_add_co_ci_u32_e32 v11, vcc_lo, 0, v11, vcc_lo
	v_cmp_gt_i32_e32 vcc_lo, 31, v12
	v_cndmask_b32_e32 v13, 0x7c00, v13, vcc_lo
	v_cmp_gt_i32_e32 vcc_lo, 31, v14
	v_cndmask_b32_e32 v11, 0x7c00, v11, vcc_lo
	v_cmp_eq_u32_e32 vcc_lo, 0x40f, v12
	v_cndmask_b32_e32 v7, v13, v7, vcc_lo
	v_cmp_eq_u32_e32 vcc_lo, 0x40f, v14
	v_and_or_b32 v7, 0x8000, v8, v7
	v_cndmask_b32_e32 v9, v11, v9, vcc_lo
	v_add_co_u32 v4, vcc_lo, v4, s4
	v_add_co_ci_u32_e32 v5, vcc_lo, s3, v5, vcc_lo
	v_and_or_b32 v8, 0x8000, v10, v9
	v_and_b32_e32 v7, 0xffff, v7
	v_lshl_or_b32 v7, v8, 16, v7
	global_store_dword v[4:5], v7, off
	global_load_dword v9, v[0:1], off offset:1332
	v_add_nc_u32_e32 v7, 0xc00, v6
	ds_read2_b32 v[7:8], v7 offset0:77 offset1:142
	s_waitcnt lgkmcnt(0)
	v_lshrrev_b32_e32 v10, 16, v7
	s_waitcnt vmcnt(0)
	v_mul_f16_sdwa v11, v10, v9 dst_sel:DWORD dst_unused:UNUSED_PAD src0_sel:DWORD src1_sel:WORD_1
	v_mul_f16_sdwa v12, v7, v9 dst_sel:DWORD dst_unused:UNUSED_PAD src0_sel:DWORD src1_sel:WORD_1
	v_fmac_f16_e32 v11, v7, v9
	v_fma_f16 v7, v9, v10, -v12
	v_cvt_f32_f16_e32 v9, v11
	v_cvt_f32_f16_e32 v7, v7
	v_cvt_f64_f32_e32 v[9:10], v9
	v_cvt_f64_f32_e32 v[11:12], v7
	v_mul_f64 v[9:10], v[9:10], s[12:13]
	v_mul_f64 v[11:12], v[11:12], s[12:13]
	v_and_or_b32 v7, 0x1ff, v10, v9
	v_and_or_b32 v11, 0x1ff, v12, v11
	v_lshrrev_b32_e32 v9, 8, v10
	v_bfe_u32 v13, v10, 20, 11
	v_lshrrev_b32_e32 v14, 8, v12
	v_cmp_ne_u32_e32 vcc_lo, 0, v7
	v_bfe_u32 v15, v12, 20, 11
	v_lshrrev_b32_e32 v10, 16, v10
	v_sub_nc_u32_e32 v16, 0x3f1, v13
	v_add_nc_u32_e32 v13, 0xfffffc10, v13
	v_cndmask_b32_e64 v7, 0, 1, vcc_lo
	v_cmp_ne_u32_e32 vcc_lo, 0, v11
	v_lshrrev_b32_e32 v12, 16, v12
	v_and_or_b32 v7, 0xffe, v9, v7
	v_cndmask_b32_e64 v11, 0, 1, vcc_lo
	v_sub_nc_u32_e32 v9, 0x3f1, v15
	v_add_nc_u32_e32 v15, 0xfffffc10, v15
	v_and_or_b32 v11, 0xffe, v14, v11
	v_med3_i32 v14, v16, 0, 13
	v_or_b32_e32 v16, 0x1000, v7
	v_med3_i32 v9, v9, 0, 13
	v_or_b32_e32 v17, 0x1000, v11
	v_lshrrev_b32_e32 v18, v14, v16
	v_lshrrev_b32_e32 v19, v9, v17
	v_lshlrev_b32_e32 v14, v14, v18
	v_lshlrev_b32_e32 v9, v9, v19
	v_cmp_ne_u32_e32 vcc_lo, v14, v16
	v_lshl_or_b32 v16, v13, 12, v7
	v_cndmask_b32_e64 v14, 0, 1, vcc_lo
	v_cmp_ne_u32_e32 vcc_lo, v9, v17
	v_lshl_or_b32 v17, v15, 12, v11
	v_or_b32_e32 v14, v18, v14
	v_cndmask_b32_e64 v9, 0, 1, vcc_lo
	v_cmp_gt_i32_e32 vcc_lo, 1, v13
	v_or_b32_e32 v9, v19, v9
	v_cndmask_b32_e32 v14, v16, v14, vcc_lo
	v_cmp_gt_i32_e32 vcc_lo, 1, v15
	v_and_b32_e32 v16, 7, v14
	v_cndmask_b32_e32 v9, v17, v9, vcc_lo
	v_cmp_ne_u32_e32 vcc_lo, 0, v7
	v_lshrrev_b32_e32 v14, 2, v14
	v_cmp_eq_u32_e64 s0, 3, v16
	v_and_b32_e32 v17, 7, v9
	v_cndmask_b32_e64 v7, 0, 1, vcc_lo
	v_cmp_ne_u32_e32 vcc_lo, 0, v11
	v_lshrrev_b32_e32 v9, 2, v9
	v_cmp_lt_i32_e64 s1, 5, v17
	v_cmp_eq_u32_e64 s2, 3, v17
	v_cndmask_b32_e64 v11, 0, 1, vcc_lo
	v_cmp_lt_i32_e32 vcc_lo, 5, v16
	v_lshl_or_b32 v7, v7, 9, 0x7c00
	v_lshl_or_b32 v11, v11, 9, 0x7c00
	s_or_b32 vcc_lo, s0, vcc_lo
	v_add_co_ci_u32_e32 v14, vcc_lo, 0, v14, vcc_lo
	s_or_b32 vcc_lo, s2, s1
	v_add_co_ci_u32_e32 v9, vcc_lo, 0, v9, vcc_lo
	v_cmp_gt_i32_e32 vcc_lo, 31, v13
	v_cndmask_b32_e32 v14, 0x7c00, v14, vcc_lo
	v_cmp_gt_i32_e32 vcc_lo, 31, v15
	v_cndmask_b32_e32 v9, 0x7c00, v9, vcc_lo
	v_cmp_eq_u32_e32 vcc_lo, 0x40f, v13
	v_cndmask_b32_e32 v7, v14, v7, vcc_lo
	v_cmp_eq_u32_e32 vcc_lo, 0x40f, v15
	v_and_or_b32 v7, 0x8000, v10, v7
	v_cndmask_b32_e32 v9, v9, v11, vcc_lo
	v_add_co_u32 v4, vcc_lo, v4, s4
	v_add_co_ci_u32_e32 v5, vcc_lo, s3, v5, vcc_lo
	v_and_or_b32 v9, 0x8000, v12, v9
	v_and_b32_e32 v7, 0xffff, v7
	v_lshl_or_b32 v7, v9, 16, v7
	v_lshrrev_b32_e32 v9, 16, v8
	global_store_dword v[4:5], v7, off
	global_load_dword v7, v[0:1], off offset:1592
	s_waitcnt vmcnt(0)
	v_mul_f16_sdwa v10, v9, v7 dst_sel:DWORD dst_unused:UNUSED_PAD src0_sel:DWORD src1_sel:WORD_1
	v_mul_f16_sdwa v11, v8, v7 dst_sel:DWORD dst_unused:UNUSED_PAD src0_sel:DWORD src1_sel:WORD_1
	v_fmac_f16_e32 v10, v8, v7
	v_fma_f16 v7, v7, v9, -v11
	v_cvt_f32_f16_e32 v8, v10
	v_cvt_f32_f16_e32 v9, v7
	v_cvt_f64_f32_e32 v[7:8], v8
	v_cvt_f64_f32_e32 v[9:10], v9
	v_mul_f64 v[7:8], v[7:8], s[12:13]
	v_mul_f64 v[9:10], v[9:10], s[12:13]
	v_and_or_b32 v7, 0x1ff, v8, v7
	v_and_or_b32 v9, 0x1ff, v10, v9
	v_lshrrev_b32_e32 v11, 8, v8
	v_bfe_u32 v12, v8, 20, 11
	v_lshrrev_b32_e32 v13, 8, v10
	v_cmp_ne_u32_e32 vcc_lo, 0, v7
	v_bfe_u32 v14, v10, 20, 11
	v_lshrrev_b32_e32 v8, 16, v8
	v_sub_nc_u32_e32 v15, 0x3f1, v12
	v_add_nc_u32_e32 v12, 0xfffffc10, v12
	v_cndmask_b32_e64 v7, 0, 1, vcc_lo
	v_cmp_ne_u32_e32 vcc_lo, 0, v9
	v_lshrrev_b32_e32 v10, 16, v10
	v_and_or_b32 v7, 0xffe, v11, v7
	v_cndmask_b32_e64 v9, 0, 1, vcc_lo
	v_sub_nc_u32_e32 v11, 0x3f1, v14
	v_add_nc_u32_e32 v14, 0xfffffc10, v14
	v_and_or_b32 v9, 0xffe, v13, v9
	v_med3_i32 v13, v15, 0, 13
	v_or_b32_e32 v15, 0x1000, v7
	v_med3_i32 v11, v11, 0, 13
	v_or_b32_e32 v16, 0x1000, v9
	v_lshrrev_b32_e32 v17, v13, v15
	v_lshrrev_b32_e32 v18, v11, v16
	v_lshlrev_b32_e32 v13, v13, v17
	v_lshlrev_b32_e32 v11, v11, v18
	v_cmp_ne_u32_e32 vcc_lo, v13, v15
	v_lshl_or_b32 v15, v12, 12, v7
	v_cndmask_b32_e64 v13, 0, 1, vcc_lo
	v_cmp_ne_u32_e32 vcc_lo, v11, v16
	v_lshl_or_b32 v16, v14, 12, v9
	v_or_b32_e32 v13, v17, v13
	v_cndmask_b32_e64 v11, 0, 1, vcc_lo
	v_cmp_gt_i32_e32 vcc_lo, 1, v12
	v_or_b32_e32 v11, v18, v11
	v_cndmask_b32_e32 v13, v15, v13, vcc_lo
	v_cmp_gt_i32_e32 vcc_lo, 1, v14
	v_and_b32_e32 v15, 7, v13
	v_cndmask_b32_e32 v11, v16, v11, vcc_lo
	v_cmp_ne_u32_e32 vcc_lo, 0, v7
	v_lshrrev_b32_e32 v13, 2, v13
	v_cmp_eq_u32_e64 s0, 3, v15
	v_and_b32_e32 v16, 7, v11
	v_cndmask_b32_e64 v7, 0, 1, vcc_lo
	v_cmp_ne_u32_e32 vcc_lo, 0, v9
	v_lshrrev_b32_e32 v11, 2, v11
	v_cmp_lt_i32_e64 s1, 5, v16
	v_cmp_eq_u32_e64 s2, 3, v16
	v_cndmask_b32_e64 v9, 0, 1, vcc_lo
	v_cmp_lt_i32_e32 vcc_lo, 5, v15
	v_lshl_or_b32 v7, v7, 9, 0x7c00
	v_lshl_or_b32 v9, v9, 9, 0x7c00
	s_or_b32 vcc_lo, s0, vcc_lo
	v_add_co_ci_u32_e32 v13, vcc_lo, 0, v13, vcc_lo
	s_or_b32 vcc_lo, s2, s1
	v_add_co_ci_u32_e32 v11, vcc_lo, 0, v11, vcc_lo
	v_cmp_gt_i32_e32 vcc_lo, 31, v12
	v_cndmask_b32_e32 v13, 0x7c00, v13, vcc_lo
	v_cmp_gt_i32_e32 vcc_lo, 31, v14
	v_cndmask_b32_e32 v11, 0x7c00, v11, vcc_lo
	v_cmp_eq_u32_e32 vcc_lo, 0x40f, v12
	v_cndmask_b32_e32 v7, v13, v7, vcc_lo
	v_cmp_eq_u32_e32 vcc_lo, 0x40f, v14
	v_and_or_b32 v7, 0x8000, v8, v7
	v_cndmask_b32_e32 v9, v11, v9, vcc_lo
	v_add_co_u32 v4, vcc_lo, v4, s4
	v_add_co_ci_u32_e32 v5, vcc_lo, s3, v5, vcc_lo
	v_and_or_b32 v8, 0x8000, v10, v9
	v_and_b32_e32 v7, 0xffff, v7
	v_lshl_or_b32 v7, v8, 16, v7
	global_store_dword v[4:5], v7, off
	global_load_dword v7, v[0:1], off offset:1852
	v_add_nc_u32_e32 v0, 0xe00, v6
	ds_read2_b32 v[0:1], v0 offset0:79 offset1:144
	s_waitcnt lgkmcnt(0)
	v_lshrrev_b32_e32 v6, 16, v0
	s_waitcnt vmcnt(0)
	v_mul_f16_sdwa v8, v6, v7 dst_sel:DWORD dst_unused:UNUSED_PAD src0_sel:DWORD src1_sel:WORD_1
	v_mul_f16_sdwa v9, v0, v7 dst_sel:DWORD dst_unused:UNUSED_PAD src0_sel:DWORD src1_sel:WORD_1
	v_fmac_f16_e32 v8, v0, v7
	v_fma_f16 v0, v7, v6, -v9
	v_cvt_f32_f16_e32 v6, v8
	v_cvt_f32_f16_e32 v0, v0
	v_cvt_f64_f32_e32 v[6:7], v6
	v_cvt_f64_f32_e32 v[8:9], v0
	v_mul_f64 v[6:7], v[6:7], s[12:13]
	v_mul_f64 v[8:9], v[8:9], s[12:13]
	v_and_or_b32 v0, 0x1ff, v7, v6
	v_and_or_b32 v8, 0x1ff, v9, v8
	v_lshrrev_b32_e32 v6, 8, v7
	v_bfe_u32 v10, v7, 20, 11
	v_lshrrev_b32_e32 v11, 8, v9
	v_cmp_ne_u32_e32 vcc_lo, 0, v0
	v_bfe_u32 v12, v9, 20, 11
	v_lshrrev_b32_e32 v7, 16, v7
	v_sub_nc_u32_e32 v13, 0x3f1, v10
	v_add_nc_u32_e32 v10, 0xfffffc10, v10
	v_cndmask_b32_e64 v0, 0, 1, vcc_lo
	v_cmp_ne_u32_e32 vcc_lo, 0, v8
	v_lshrrev_b32_e32 v9, 16, v9
	v_and_or_b32 v0, 0xffe, v6, v0
	v_cndmask_b32_e64 v8, 0, 1, vcc_lo
	v_sub_nc_u32_e32 v6, 0x3f1, v12
	v_add_nc_u32_e32 v12, 0xfffffc10, v12
	v_and_or_b32 v8, 0xffe, v11, v8
	v_med3_i32 v11, v13, 0, 13
	v_or_b32_e32 v13, 0x1000, v0
	v_med3_i32 v6, v6, 0, 13
	v_or_b32_e32 v14, 0x1000, v8
	v_lshrrev_b32_e32 v15, v11, v13
	v_lshrrev_b32_e32 v16, v6, v14
	v_lshlrev_b32_e32 v11, v11, v15
	v_lshlrev_b32_e32 v6, v6, v16
	v_cmp_ne_u32_e32 vcc_lo, v11, v13
	v_lshl_or_b32 v13, v10, 12, v0
	v_cndmask_b32_e64 v11, 0, 1, vcc_lo
	v_cmp_ne_u32_e32 vcc_lo, v6, v14
	v_lshl_or_b32 v14, v12, 12, v8
	v_or_b32_e32 v11, v15, v11
	v_cndmask_b32_e64 v6, 0, 1, vcc_lo
	v_cmp_gt_i32_e32 vcc_lo, 1, v10
	v_or_b32_e32 v6, v16, v6
	v_cndmask_b32_e32 v11, v13, v11, vcc_lo
	v_cmp_gt_i32_e32 vcc_lo, 1, v12
	v_and_b32_e32 v13, 7, v11
	v_cndmask_b32_e32 v6, v14, v6, vcc_lo
	v_cmp_ne_u32_e32 vcc_lo, 0, v0
	v_lshrrev_b32_e32 v11, 2, v11
	v_cmp_eq_u32_e64 s0, 3, v13
	v_and_b32_e32 v14, 7, v6
	v_cndmask_b32_e64 v0, 0, 1, vcc_lo
	v_cmp_ne_u32_e32 vcc_lo, 0, v8
	v_lshrrev_b32_e32 v6, 2, v6
	v_cmp_lt_i32_e64 s1, 5, v14
	v_cmp_eq_u32_e64 s2, 3, v14
	v_cndmask_b32_e64 v8, 0, 1, vcc_lo
	v_cmp_lt_i32_e32 vcc_lo, 5, v13
	v_lshl_or_b32 v0, v0, 9, 0x7c00
	v_lshl_or_b32 v8, v8, 9, 0x7c00
	s_or_b32 vcc_lo, s0, vcc_lo
	v_add_co_ci_u32_e32 v11, vcc_lo, 0, v11, vcc_lo
	s_or_b32 vcc_lo, s2, s1
	v_add_co_ci_u32_e32 v6, vcc_lo, 0, v6, vcc_lo
	v_cmp_gt_i32_e32 vcc_lo, 31, v10
	v_cndmask_b32_e32 v11, 0x7c00, v11, vcc_lo
	v_cmp_gt_i32_e32 vcc_lo, 31, v12
	v_cndmask_b32_e32 v6, 0x7c00, v6, vcc_lo
	v_cmp_eq_u32_e32 vcc_lo, 0x40f, v10
	v_cndmask_b32_e32 v0, v11, v0, vcc_lo
	v_cmp_eq_u32_e32 vcc_lo, 0x40f, v12
	v_and_or_b32 v0, 0x8000, v7, v0
	v_cndmask_b32_e32 v6, v6, v8, vcc_lo
	v_add_co_u32 v4, vcc_lo, v4, s4
	v_add_co_ci_u32_e32 v5, vcc_lo, s3, v5, vcc_lo
	v_and_or_b32 v6, 0x8000, v9, v6
	v_and_b32_e32 v0, 0xffff, v0
	v_add_co_u32 v2, vcc_lo, 0x1000, v2
	v_add_co_ci_u32_e32 v3, vcc_lo, 0, v3, vcc_lo
	v_lshl_or_b32 v0, v6, 16, v0
	global_store_dword v[4:5], v0, off
	global_load_dword v0, v[2:3], off offset:64
	v_lshrrev_b32_e32 v2, 16, v1
	s_waitcnt vmcnt(0)
	v_mul_f16_sdwa v3, v2, v0 dst_sel:DWORD dst_unused:UNUSED_PAD src0_sel:DWORD src1_sel:WORD_1
	v_mul_f16_sdwa v6, v1, v0 dst_sel:DWORD dst_unused:UNUSED_PAD src0_sel:DWORD src1_sel:WORD_1
	v_fmac_f16_e32 v3, v1, v0
	v_fma_f16 v0, v0, v2, -v6
	v_cvt_f32_f16_e32 v1, v3
	v_cvt_f32_f16_e32 v2, v0
	v_cvt_f64_f32_e32 v[0:1], v1
	v_cvt_f64_f32_e32 v[2:3], v2
	v_mul_f64 v[0:1], v[0:1], s[12:13]
	v_mul_f64 v[2:3], v[2:3], s[12:13]
	v_and_or_b32 v0, 0x1ff, v1, v0
	v_and_or_b32 v2, 0x1ff, v3, v2
	v_lshrrev_b32_e32 v6, 8, v1
	v_bfe_u32 v7, v1, 20, 11
	v_lshrrev_b32_e32 v8, 8, v3
	v_cmp_ne_u32_e32 vcc_lo, 0, v0
	v_bfe_u32 v9, v3, 20, 11
	v_lshrrev_b32_e32 v1, 16, v1
	v_sub_nc_u32_e32 v10, 0x3f1, v7
	v_add_nc_u32_e32 v7, 0xfffffc10, v7
	v_cndmask_b32_e64 v0, 0, 1, vcc_lo
	v_cmp_ne_u32_e32 vcc_lo, 0, v2
	v_lshrrev_b32_e32 v3, 16, v3
	v_and_or_b32 v0, 0xffe, v6, v0
	v_cndmask_b32_e64 v2, 0, 1, vcc_lo
	v_sub_nc_u32_e32 v6, 0x3f1, v9
	v_add_nc_u32_e32 v9, 0xfffffc10, v9
	v_and_or_b32 v2, 0xffe, v8, v2
	v_med3_i32 v8, v10, 0, 13
	v_or_b32_e32 v10, 0x1000, v0
	v_med3_i32 v6, v6, 0, 13
	v_or_b32_e32 v11, 0x1000, v2
	v_lshrrev_b32_e32 v12, v8, v10
	v_lshrrev_b32_e32 v13, v6, v11
	v_lshlrev_b32_e32 v8, v8, v12
	v_lshlrev_b32_e32 v6, v6, v13
	v_cmp_ne_u32_e32 vcc_lo, v8, v10
	v_lshl_or_b32 v10, v7, 12, v0
	v_cndmask_b32_e64 v8, 0, 1, vcc_lo
	v_cmp_ne_u32_e32 vcc_lo, v6, v11
	v_lshl_or_b32 v11, v9, 12, v2
	v_or_b32_e32 v8, v12, v8
	v_cndmask_b32_e64 v6, 0, 1, vcc_lo
	v_cmp_gt_i32_e32 vcc_lo, 1, v7
	v_or_b32_e32 v6, v13, v6
	v_cndmask_b32_e32 v8, v10, v8, vcc_lo
	v_cmp_gt_i32_e32 vcc_lo, 1, v9
	v_and_b32_e32 v10, 7, v8
	v_cndmask_b32_e32 v6, v11, v6, vcc_lo
	v_cmp_ne_u32_e32 vcc_lo, 0, v0
	v_lshrrev_b32_e32 v8, 2, v8
	v_cmp_eq_u32_e64 s0, 3, v10
	v_and_b32_e32 v11, 7, v6
	v_cndmask_b32_e64 v0, 0, 1, vcc_lo
	v_cmp_ne_u32_e32 vcc_lo, 0, v2
	v_lshrrev_b32_e32 v6, 2, v6
	v_cmp_lt_i32_e64 s1, 5, v11
	v_cmp_eq_u32_e64 s2, 3, v11
	v_cndmask_b32_e64 v2, 0, 1, vcc_lo
	v_cmp_lt_i32_e32 vcc_lo, 5, v10
	v_lshl_or_b32 v0, v0, 9, 0x7c00
	v_lshl_or_b32 v2, v2, 9, 0x7c00
	s_or_b32 vcc_lo, s0, vcc_lo
	v_add_co_ci_u32_e32 v8, vcc_lo, 0, v8, vcc_lo
	s_or_b32 vcc_lo, s2, s1
	v_add_co_ci_u32_e32 v6, vcc_lo, 0, v6, vcc_lo
	v_cmp_gt_i32_e32 vcc_lo, 31, v7
	v_cndmask_b32_e32 v8, 0x7c00, v8, vcc_lo
	v_cmp_gt_i32_e32 vcc_lo, 31, v9
	v_cndmask_b32_e32 v6, 0x7c00, v6, vcc_lo
	v_cmp_eq_u32_e32 vcc_lo, 0x40f, v7
	v_cndmask_b32_e32 v0, v8, v0, vcc_lo
	v_cmp_eq_u32_e32 vcc_lo, 0x40f, v9
	v_and_or_b32 v0, 0x8000, v1, v0
	v_cndmask_b32_e32 v2, v6, v2, vcc_lo
	v_and_b32_e32 v0, 0xffff, v0
	v_and_or_b32 v1, 0x8000, v3, v2
	v_lshl_or_b32 v2, v1, 16, v0
	v_add_co_u32 v0, vcc_lo, v4, s4
	v_add_co_ci_u32_e32 v1, vcc_lo, s3, v5, vcc_lo
	global_store_dword v[0:1], v2, off
.LBB0_23:
	s_endpgm
	.section	.rodata,"a",@progbits
	.p2align	6, 0x0
	.amdhsa_kernel bluestein_single_fwd_len1105_dim1_half_op_CI_CI
		.amdhsa_group_segment_fixed_size 13260
		.amdhsa_private_segment_fixed_size 0
		.amdhsa_kernarg_size 104
		.amdhsa_user_sgpr_count 6
		.amdhsa_user_sgpr_private_segment_buffer 1
		.amdhsa_user_sgpr_dispatch_ptr 0
		.amdhsa_user_sgpr_queue_ptr 0
		.amdhsa_user_sgpr_kernarg_segment_ptr 1
		.amdhsa_user_sgpr_dispatch_id 0
		.amdhsa_user_sgpr_flat_scratch_init 0
		.amdhsa_user_sgpr_private_segment_size 0
		.amdhsa_wavefront_size32 1
		.amdhsa_uses_dynamic_stack 0
		.amdhsa_system_sgpr_private_segment_wavefront_offset 0
		.amdhsa_system_sgpr_workgroup_id_x 1
		.amdhsa_system_sgpr_workgroup_id_y 0
		.amdhsa_system_sgpr_workgroup_id_z 0
		.amdhsa_system_sgpr_workgroup_info 0
		.amdhsa_system_vgpr_workitem_id 0
		.amdhsa_next_free_vgpr 209
		.amdhsa_next_free_sgpr 16
		.amdhsa_reserve_vcc 1
		.amdhsa_reserve_flat_scratch 0
		.amdhsa_float_round_mode_32 0
		.amdhsa_float_round_mode_16_64 0
		.amdhsa_float_denorm_mode_32 3
		.amdhsa_float_denorm_mode_16_64 3
		.amdhsa_dx10_clamp 1
		.amdhsa_ieee_mode 1
		.amdhsa_fp16_overflow 0
		.amdhsa_workgroup_processor_mode 1
		.amdhsa_memory_ordered 1
		.amdhsa_forward_progress 0
		.amdhsa_shared_vgpr_count 0
		.amdhsa_exception_fp_ieee_invalid_op 0
		.amdhsa_exception_fp_denorm_src 0
		.amdhsa_exception_fp_ieee_div_zero 0
		.amdhsa_exception_fp_ieee_overflow 0
		.amdhsa_exception_fp_ieee_underflow 0
		.amdhsa_exception_fp_ieee_inexact 0
		.amdhsa_exception_int_div_zero 0
	.end_amdhsa_kernel
	.text
.Lfunc_end0:
	.size	bluestein_single_fwd_len1105_dim1_half_op_CI_CI, .Lfunc_end0-bluestein_single_fwd_len1105_dim1_half_op_CI_CI
                                        ; -- End function
	.section	.AMDGPU.csdata,"",@progbits
; Kernel info:
; codeLenInByte = 33956
; NumSgprs: 18
; NumVgprs: 209
; ScratchSize: 0
; MemoryBound: 0
; FloatMode: 240
; IeeeMode: 1
; LDSByteSize: 13260 bytes/workgroup (compile time only)
; SGPRBlocks: 2
; VGPRBlocks: 26
; NumSGPRsForWavesPerEU: 18
; NumVGPRsForWavesPerEU: 209
; Occupancy: 4
; WaveLimiterHint : 1
; COMPUTE_PGM_RSRC2:SCRATCH_EN: 0
; COMPUTE_PGM_RSRC2:USER_SGPR: 6
; COMPUTE_PGM_RSRC2:TRAP_HANDLER: 0
; COMPUTE_PGM_RSRC2:TGID_X_EN: 1
; COMPUTE_PGM_RSRC2:TGID_Y_EN: 0
; COMPUTE_PGM_RSRC2:TGID_Z_EN: 0
; COMPUTE_PGM_RSRC2:TIDIG_COMP_CNT: 0
	.text
	.p2alignl 6, 3214868480
	.fill 48, 4, 3214868480
	.type	__hip_cuid_119d0e0b03f50150,@object ; @__hip_cuid_119d0e0b03f50150
	.section	.bss,"aw",@nobits
	.globl	__hip_cuid_119d0e0b03f50150
__hip_cuid_119d0e0b03f50150:
	.byte	0                               ; 0x0
	.size	__hip_cuid_119d0e0b03f50150, 1

	.ident	"AMD clang version 19.0.0git (https://github.com/RadeonOpenCompute/llvm-project roc-6.4.0 25133 c7fe45cf4b819c5991fe208aaa96edf142730f1d)"
	.section	".note.GNU-stack","",@progbits
	.addrsig
	.addrsig_sym __hip_cuid_119d0e0b03f50150
	.amdgpu_metadata
---
amdhsa.kernels:
  - .args:
      - .actual_access:  read_only
        .address_space:  global
        .offset:         0
        .size:           8
        .value_kind:     global_buffer
      - .actual_access:  read_only
        .address_space:  global
        .offset:         8
        .size:           8
        .value_kind:     global_buffer
      - .actual_access:  read_only
        .address_space:  global
        .offset:         16
        .size:           8
        .value_kind:     global_buffer
      - .actual_access:  read_only
        .address_space:  global
        .offset:         24
        .size:           8
        .value_kind:     global_buffer
      - .actual_access:  read_only
        .address_space:  global
        .offset:         32
        .size:           8
        .value_kind:     global_buffer
      - .offset:         40
        .size:           8
        .value_kind:     by_value
      - .address_space:  global
        .offset:         48
        .size:           8
        .value_kind:     global_buffer
      - .address_space:  global
        .offset:         56
        .size:           8
        .value_kind:     global_buffer
      - .address_space:  global
        .offset:         64
        .size:           8
        .value_kind:     global_buffer
      - .address_space:  global
        .offset:         72
        .size:           8
        .value_kind:     global_buffer
      - .offset:         80
        .size:           4
        .value_kind:     by_value
      - .address_space:  global
        .offset:         88
        .size:           8
        .value_kind:     global_buffer
      - .address_space:  global
        .offset:         96
        .size:           8
        .value_kind:     global_buffer
    .group_segment_fixed_size: 13260
    .kernarg_segment_align: 8
    .kernarg_segment_size: 104
    .language:       OpenCL C
    .language_version:
      - 2
      - 0
    .max_flat_workgroup_size: 255
    .name:           bluestein_single_fwd_len1105_dim1_half_op_CI_CI
    .private_segment_fixed_size: 0
    .sgpr_count:     18
    .sgpr_spill_count: 0
    .symbol:         bluestein_single_fwd_len1105_dim1_half_op_CI_CI.kd
    .uniform_work_group_size: 1
    .uses_dynamic_stack: false
    .vgpr_count:     209
    .vgpr_spill_count: 0
    .wavefront_size: 32
    .workgroup_processor_mode: 1
amdhsa.target:   amdgcn-amd-amdhsa--gfx1030
amdhsa.version:
  - 1
  - 2
...

	.end_amdgpu_metadata
